;; amdgpu-corpus repo=ROCm/rocFFT kind=compiled arch=gfx1201 opt=O3
	.text
	.amdgcn_target "amdgcn-amd-amdhsa--gfx1201"
	.amdhsa_code_object_version 6
	.protected	fft_rtc_back_len714_factors_3_17_7_2_wgs_51_tpt_51_halfLds_dp_op_CI_CI_sbrr_dirReg ; -- Begin function fft_rtc_back_len714_factors_3_17_7_2_wgs_51_tpt_51_halfLds_dp_op_CI_CI_sbrr_dirReg
	.globl	fft_rtc_back_len714_factors_3_17_7_2_wgs_51_tpt_51_halfLds_dp_op_CI_CI_sbrr_dirReg
	.p2align	8
	.type	fft_rtc_back_len714_factors_3_17_7_2_wgs_51_tpt_51_halfLds_dp_op_CI_CI_sbrr_dirReg,@function
fft_rtc_back_len714_factors_3_17_7_2_wgs_51_tpt_51_halfLds_dp_op_CI_CI_sbrr_dirReg: ; @fft_rtc_back_len714_factors_3_17_7_2_wgs_51_tpt_51_halfLds_dp_op_CI_CI_sbrr_dirReg
; %bb.0:
	s_clause 0x2
	s_load_b128 s[12:15], s[0:1], 0x18
	s_load_b128 s[8:11], s[0:1], 0x0
	;; [unrolled: 1-line block ×3, first 2 shown]
	v_mul_u32_u24_e32 v1, 0x506, v0
	v_mov_b32_e32 v4, 0
	v_mov_b32_e32 v5, 0
	s_wait_kmcnt 0x0
	s_load_b64 s[18:19], s[12:13], 0x0
	s_load_b64 s[16:17], s[14:15], 0x0
	v_lshrrev_b32_e32 v2, 16, v1
	v_mov_b32_e32 v1, 0
	v_cmp_lt_u64_e64 s2, s[10:11], 2
	s_delay_alu instid0(VALU_DEP_2) | instskip(NEXT) | instid1(VALU_DEP_2)
	v_dual_mov_b32 v7, v1 :: v_dual_add_nc_u32 v6, ttmp9, v2
	s_and_b32 vcc_lo, exec_lo, s2
	s_cbranch_vccnz .LBB0_8
; %bb.1:
	s_load_b64 s[2:3], s[0:1], 0x10
	v_mov_b32_e32 v4, 0
	v_mov_b32_e32 v5, 0
	s_add_nc_u64 s[20:21], s[14:15], 8
	s_add_nc_u64 s[22:23], s[12:13], 8
	s_mov_b64 s[24:25], 1
	s_delay_alu instid0(VALU_DEP_1)
	v_dual_mov_b32 v93, v5 :: v_dual_mov_b32 v92, v4
	s_wait_kmcnt 0x0
	s_add_nc_u64 s[26:27], s[2:3], 8
	s_mov_b32 s3, 0
.LBB0_2:                                ; =>This Inner Loop Header: Depth=1
	s_load_b64 s[28:29], s[26:27], 0x0
                                        ; implicit-def: $vgpr96_vgpr97
	s_mov_b32 s2, exec_lo
	s_wait_kmcnt 0x0
	v_or_b32_e32 v2, s29, v7
	s_delay_alu instid0(VALU_DEP_1)
	v_cmpx_ne_u64_e32 0, v[1:2]
	s_wait_alu 0xfffe
	s_xor_b32 s30, exec_lo, s2
	s_cbranch_execz .LBB0_4
; %bb.3:                                ;   in Loop: Header=BB0_2 Depth=1
	s_cvt_f32_u32 s2, s28
	s_cvt_f32_u32 s31, s29
	s_sub_nc_u64 s[36:37], 0, s[28:29]
	s_wait_alu 0xfffe
	s_delay_alu instid0(SALU_CYCLE_1) | instskip(SKIP_1) | instid1(SALU_CYCLE_2)
	s_fmamk_f32 s2, s31, 0x4f800000, s2
	s_wait_alu 0xfffe
	v_s_rcp_f32 s2, s2
	s_delay_alu instid0(TRANS32_DEP_1) | instskip(SKIP_1) | instid1(SALU_CYCLE_2)
	s_mul_f32 s2, s2, 0x5f7ffffc
	s_wait_alu 0xfffe
	s_mul_f32 s31, s2, 0x2f800000
	s_wait_alu 0xfffe
	s_delay_alu instid0(SALU_CYCLE_2) | instskip(SKIP_1) | instid1(SALU_CYCLE_2)
	s_trunc_f32 s31, s31
	s_wait_alu 0xfffe
	s_fmamk_f32 s2, s31, 0xcf800000, s2
	s_cvt_u32_f32 s35, s31
	s_wait_alu 0xfffe
	s_delay_alu instid0(SALU_CYCLE_1) | instskip(SKIP_1) | instid1(SALU_CYCLE_2)
	s_cvt_u32_f32 s34, s2
	s_wait_alu 0xfffe
	s_mul_u64 s[38:39], s[36:37], s[34:35]
	s_wait_alu 0xfffe
	s_mul_hi_u32 s41, s34, s39
	s_mul_i32 s40, s34, s39
	s_mul_hi_u32 s2, s34, s38
	s_mul_i32 s33, s35, s38
	s_wait_alu 0xfffe
	s_add_nc_u64 s[40:41], s[2:3], s[40:41]
	s_mul_hi_u32 s31, s35, s38
	s_mul_hi_u32 s42, s35, s39
	s_add_co_u32 s2, s40, s33
	s_wait_alu 0xfffe
	s_add_co_ci_u32 s2, s41, s31
	s_mul_i32 s38, s35, s39
	s_add_co_ci_u32 s39, s42, 0
	s_wait_alu 0xfffe
	s_add_nc_u64 s[38:39], s[2:3], s[38:39]
	s_wait_alu 0xfffe
	v_add_co_u32 v2, s2, s34, s38
	s_delay_alu instid0(VALU_DEP_1) | instskip(SKIP_1) | instid1(VALU_DEP_1)
	s_cmp_lg_u32 s2, 0
	s_add_co_ci_u32 s35, s35, s39
	v_readfirstlane_b32 s34, v2
	s_wait_alu 0xfffe
	s_delay_alu instid0(VALU_DEP_1)
	s_mul_u64 s[36:37], s[36:37], s[34:35]
	s_wait_alu 0xfffe
	s_mul_hi_u32 s39, s34, s37
	s_mul_i32 s38, s34, s37
	s_mul_hi_u32 s2, s34, s36
	s_mul_i32 s33, s35, s36
	s_wait_alu 0xfffe
	s_add_nc_u64 s[38:39], s[2:3], s[38:39]
	s_mul_hi_u32 s31, s35, s36
	s_mul_hi_u32 s34, s35, s37
	s_wait_alu 0xfffe
	s_add_co_u32 s2, s38, s33
	s_add_co_ci_u32 s2, s39, s31
	s_mul_i32 s36, s35, s37
	s_add_co_ci_u32 s37, s34, 0
	s_wait_alu 0xfffe
	s_add_nc_u64 s[36:37], s[2:3], s[36:37]
	s_wait_alu 0xfffe
	v_add_co_u32 v8, s2, v2, s36
	s_delay_alu instid0(VALU_DEP_1) | instskip(SKIP_1) | instid1(VALU_DEP_1)
	s_cmp_lg_u32 s2, 0
	s_add_co_ci_u32 s2, s35, s37
	v_mul_hi_u32 v12, v6, v8
	s_wait_alu 0xfffe
	v_mad_co_u64_u32 v[2:3], null, v6, s2, 0
	v_mad_co_u64_u32 v[8:9], null, v7, v8, 0
	;; [unrolled: 1-line block ×3, first 2 shown]
	s_delay_alu instid0(VALU_DEP_3) | instskip(SKIP_1) | instid1(VALU_DEP_4)
	v_add_co_u32 v2, vcc_lo, v12, v2
	s_wait_alu 0xfffd
	v_add_co_ci_u32_e32 v3, vcc_lo, 0, v3, vcc_lo
	s_delay_alu instid0(VALU_DEP_2) | instskip(SKIP_1) | instid1(VALU_DEP_2)
	v_add_co_u32 v2, vcc_lo, v2, v8
	s_wait_alu 0xfffd
	v_add_co_ci_u32_e32 v2, vcc_lo, v3, v9, vcc_lo
	s_wait_alu 0xfffd
	v_add_co_ci_u32_e32 v3, vcc_lo, 0, v11, vcc_lo
	s_delay_alu instid0(VALU_DEP_2) | instskip(SKIP_1) | instid1(VALU_DEP_2)
	v_add_co_u32 v8, vcc_lo, v2, v10
	s_wait_alu 0xfffd
	v_add_co_ci_u32_e32 v9, vcc_lo, 0, v3, vcc_lo
	s_delay_alu instid0(VALU_DEP_2) | instskip(SKIP_1) | instid1(VALU_DEP_3)
	v_mul_lo_u32 v10, s29, v8
	v_mad_co_u64_u32 v[2:3], null, s28, v8, 0
	v_mul_lo_u32 v11, s28, v9
	s_delay_alu instid0(VALU_DEP_2) | instskip(NEXT) | instid1(VALU_DEP_2)
	v_sub_co_u32 v2, vcc_lo, v6, v2
	v_add3_u32 v3, v3, v11, v10
	s_delay_alu instid0(VALU_DEP_1) | instskip(SKIP_1) | instid1(VALU_DEP_1)
	v_sub_nc_u32_e32 v10, v7, v3
	s_wait_alu 0xfffd
	v_subrev_co_ci_u32_e64 v10, s2, s29, v10, vcc_lo
	v_add_co_u32 v11, s2, v8, 2
	s_wait_alu 0xf1ff
	v_add_co_ci_u32_e64 v12, s2, 0, v9, s2
	v_sub_co_u32 v13, s2, v2, s28
	v_sub_co_ci_u32_e32 v3, vcc_lo, v7, v3, vcc_lo
	s_wait_alu 0xf1ff
	v_subrev_co_ci_u32_e64 v10, s2, 0, v10, s2
	s_delay_alu instid0(VALU_DEP_3) | instskip(NEXT) | instid1(VALU_DEP_3)
	v_cmp_le_u32_e32 vcc_lo, s28, v13
	v_cmp_eq_u32_e64 s2, s29, v3
	s_wait_alu 0xfffd
	v_cndmask_b32_e64 v13, 0, -1, vcc_lo
	v_cmp_le_u32_e32 vcc_lo, s29, v10
	s_wait_alu 0xfffd
	v_cndmask_b32_e64 v14, 0, -1, vcc_lo
	v_cmp_le_u32_e32 vcc_lo, s28, v2
	;; [unrolled: 3-line block ×3, first 2 shown]
	s_wait_alu 0xfffd
	v_cndmask_b32_e64 v15, 0, -1, vcc_lo
	v_cmp_eq_u32_e32 vcc_lo, s29, v10
	s_wait_alu 0xf1ff
	s_delay_alu instid0(VALU_DEP_2)
	v_cndmask_b32_e64 v2, v15, v2, s2
	s_wait_alu 0xfffd
	v_cndmask_b32_e32 v10, v14, v13, vcc_lo
	v_add_co_u32 v13, vcc_lo, v8, 1
	s_wait_alu 0xfffd
	v_add_co_ci_u32_e32 v14, vcc_lo, 0, v9, vcc_lo
	s_delay_alu instid0(VALU_DEP_3) | instskip(SKIP_1) | instid1(VALU_DEP_2)
	v_cmp_ne_u32_e32 vcc_lo, 0, v10
	s_wait_alu 0xfffd
	v_dual_cndmask_b32 v3, v14, v12 :: v_dual_cndmask_b32 v10, v13, v11
	v_cmp_ne_u32_e32 vcc_lo, 0, v2
	s_wait_alu 0xfffd
	s_delay_alu instid0(VALU_DEP_2)
	v_dual_cndmask_b32 v97, v9, v3 :: v_dual_cndmask_b32 v96, v8, v10
.LBB0_4:                                ;   in Loop: Header=BB0_2 Depth=1
	s_wait_alu 0xfffe
	s_and_not1_saveexec_b32 s2, s30
	s_cbranch_execz .LBB0_6
; %bb.5:                                ;   in Loop: Header=BB0_2 Depth=1
	v_cvt_f32_u32_e32 v2, s28
	s_sub_co_i32 s30, 0, s28
	v_mov_b32_e32 v97, v1
	s_delay_alu instid0(VALU_DEP_2) | instskip(NEXT) | instid1(TRANS32_DEP_1)
	v_rcp_iflag_f32_e32 v2, v2
	v_mul_f32_e32 v2, 0x4f7ffffe, v2
	s_delay_alu instid0(VALU_DEP_1) | instskip(SKIP_1) | instid1(VALU_DEP_1)
	v_cvt_u32_f32_e32 v2, v2
	s_wait_alu 0xfffe
	v_mul_lo_u32 v3, s30, v2
	s_delay_alu instid0(VALU_DEP_1) | instskip(NEXT) | instid1(VALU_DEP_1)
	v_mul_hi_u32 v3, v2, v3
	v_add_nc_u32_e32 v2, v2, v3
	s_delay_alu instid0(VALU_DEP_1) | instskip(NEXT) | instid1(VALU_DEP_1)
	v_mul_hi_u32 v2, v6, v2
	v_mul_lo_u32 v3, v2, s28
	v_add_nc_u32_e32 v8, 1, v2
	s_delay_alu instid0(VALU_DEP_2) | instskip(NEXT) | instid1(VALU_DEP_1)
	v_sub_nc_u32_e32 v3, v6, v3
	v_subrev_nc_u32_e32 v9, s28, v3
	v_cmp_le_u32_e32 vcc_lo, s28, v3
	s_wait_alu 0xfffd
	s_delay_alu instid0(VALU_DEP_2) | instskip(NEXT) | instid1(VALU_DEP_1)
	v_dual_cndmask_b32 v3, v3, v9 :: v_dual_cndmask_b32 v2, v2, v8
	v_cmp_le_u32_e32 vcc_lo, s28, v3
	s_delay_alu instid0(VALU_DEP_2) | instskip(SKIP_1) | instid1(VALU_DEP_1)
	v_add_nc_u32_e32 v8, 1, v2
	s_wait_alu 0xfffd
	v_cndmask_b32_e32 v96, v2, v8, vcc_lo
.LBB0_6:                                ;   in Loop: Header=BB0_2 Depth=1
	s_wait_alu 0xfffe
	s_or_b32 exec_lo, exec_lo, s2
	v_mul_lo_u32 v8, v97, s28
	s_delay_alu instid0(VALU_DEP_2)
	v_mul_lo_u32 v9, v96, s29
	s_load_b64 s[30:31], s[22:23], 0x0
	v_mad_co_u64_u32 v[2:3], null, v96, s28, 0
	s_load_b64 s[28:29], s[20:21], 0x0
	s_add_nc_u64 s[24:25], s[24:25], 1
	s_add_nc_u64 s[20:21], s[20:21], 8
	s_wait_alu 0xfffe
	v_cmp_ge_u64_e64 s2, s[24:25], s[10:11]
	s_add_nc_u64 s[22:23], s[22:23], 8
	s_add_nc_u64 s[26:27], s[26:27], 8
	v_add3_u32 v3, v3, v9, v8
	v_sub_co_u32 v2, vcc_lo, v6, v2
	s_wait_alu 0xfffd
	s_delay_alu instid0(VALU_DEP_2) | instskip(SKIP_2) | instid1(VALU_DEP_1)
	v_sub_co_ci_u32_e32 v3, vcc_lo, v7, v3, vcc_lo
	s_and_b32 vcc_lo, exec_lo, s2
	s_wait_kmcnt 0x0
	v_mul_lo_u32 v6, s30, v3
	v_mul_lo_u32 v7, s31, v2
	v_mad_co_u64_u32 v[4:5], null, s30, v2, v[4:5]
	v_mul_lo_u32 v3, s28, v3
	v_mul_lo_u32 v8, s29, v2
	v_mad_co_u64_u32 v[92:93], null, s28, v2, v[92:93]
	s_delay_alu instid0(VALU_DEP_4) | instskip(NEXT) | instid1(VALU_DEP_2)
	v_add3_u32 v5, v7, v5, v6
	v_add3_u32 v93, v8, v93, v3
	s_wait_alu 0xfffe
	s_cbranch_vccnz .LBB0_9
; %bb.7:                                ;   in Loop: Header=BB0_2 Depth=1
	v_dual_mov_b32 v6, v96 :: v_dual_mov_b32 v7, v97
	s_branch .LBB0_2
.LBB0_8:
	v_dual_mov_b32 v93, v5 :: v_dual_mov_b32 v92, v4
	s_delay_alu instid0(VALU_DEP_2)
	v_dual_mov_b32 v97, v7 :: v_dual_mov_b32 v96, v6
.LBB0_9:
	s_load_b64 s[0:1], s[0:1], 0x28
	v_mul_hi_u32 v1, 0x5050506, v0
	s_lshl_b64 s[10:11], s[10:11], 3
                                        ; implicit-def: $vgpr94
                                        ; implicit-def: $vgpr98
                                        ; implicit-def: $vgpr100
                                        ; implicit-def: $vgpr102
	s_wait_alu 0xfffe
	s_add_nc_u64 s[2:3], s[14:15], s[10:11]
	s_wait_kmcnt 0x0
	v_cmp_gt_u64_e32 vcc_lo, s[0:1], v[96:97]
	v_cmp_le_u64_e64 s0, s[0:1], v[96:97]
	s_delay_alu instid0(VALU_DEP_1)
	s_and_saveexec_b32 s1, s0
	s_wait_alu 0xfffe
	s_xor_b32 s0, exec_lo, s1
; %bb.10:
	v_mul_u32_u24_e32 v1, 51, v1
                                        ; implicit-def: $vgpr4_vgpr5
	s_delay_alu instid0(VALU_DEP_1) | instskip(NEXT) | instid1(VALU_DEP_1)
	v_sub_nc_u32_e32 v94, v0, v1
                                        ; implicit-def: $vgpr1
                                        ; implicit-def: $vgpr0
	v_add_nc_u32_e32 v98, 51, v94
	v_add_nc_u32_e32 v100, 0x66, v94
	v_add_nc_u32_e32 v102, 0x99, v94
; %bb.11:
	s_wait_alu 0xfffe
	s_or_saveexec_b32 s1, s0
	s_load_b64 s[2:3], s[2:3], 0x0
                                        ; implicit-def: $vgpr82_vgpr83
                                        ; implicit-def: $vgpr90_vgpr91
                                        ; implicit-def: $vgpr86_vgpr87
                                        ; implicit-def: $vgpr62_vgpr63
                                        ; implicit-def: $vgpr70_vgpr71
                                        ; implicit-def: $vgpr66_vgpr67
                                        ; implicit-def: $vgpr58_vgpr59
                                        ; implicit-def: $vgpr78_vgpr79
                                        ; implicit-def: $vgpr74_vgpr75
                                        ; implicit-def: $vgpr22_vgpr23
                                        ; implicit-def: $vgpr30_vgpr31
                                        ; implicit-def: $vgpr18_vgpr19
                                        ; implicit-def: $vgpr14_vgpr15
                                        ; implicit-def: $vgpr10_vgpr11
                                        ; implicit-def: $vgpr2_vgpr3
	s_xor_b32 exec_lo, exec_lo, s1
	s_cbranch_execz .LBB0_15
; %bb.12:
	v_mul_u32_u24_e32 v1, 51, v1
	s_add_nc_u64 s[10:11], s[12:13], s[10:11]
	v_lshlrev_b64_e32 v[4:5], 4, v[4:5]
	s_load_b64 s[10:11], s[10:11], 0x0
                                        ; implicit-def: $vgpr84_vgpr85
                                        ; implicit-def: $vgpr88_vgpr89
                                        ; implicit-def: $vgpr80_vgpr81
	s_delay_alu instid0(VALU_DEP_2) | instskip(NEXT) | instid1(VALU_DEP_1)
	v_sub_nc_u32_e32 v94, v0, v1
	v_add_nc_u32_e32 v98, 51, v94
	v_mad_co_u64_u32 v[0:1], null, s18, v94, 0
	v_add_nc_u32_e32 v100, 0x66, v94
	v_add_nc_u32_e32 v28, 0x154, v94
	s_delay_alu instid0(VALU_DEP_4) | instskip(SKIP_1) | instid1(VALU_DEP_4)
	v_mad_co_u64_u32 v[12:13], null, s18, v98, 0
	v_add_nc_u32_e32 v16, 0xee, v94
	v_mad_co_u64_u32 v[24:25], null, s18, v100, 0
	s_delay_alu instid0(VALU_DEP_4) | instskip(NEXT) | instid1(VALU_DEP_3)
	v_mad_co_u64_u32 v[26:27], null, s18, v28, 0
	v_mad_co_u64_u32 v[2:3], null, s18, v16, 0
	s_wait_kmcnt 0x0
	v_mul_lo_u32 v17, s11, v96
	v_mul_lo_u32 v20, s10, v97
	v_mad_co_u64_u32 v[8:9], null, s10, v96, 0
	v_add_nc_u32_e32 v36, 0x242, v94
	v_add_nc_u32_e32 v41, 0x187, v94
	v_mad_co_u64_u32 v[10:11], null, s19, v94, v[1:2]
	v_dual_mov_b32 v11, v13 :: v_dual_add_nc_u32 v18, 0x1dc, v94
	v_add3_u32 v9, v9, v20, v17
	v_mad_co_u64_u32 v[16:17], null, s19, v16, v[3:4]
	s_delay_alu instid0(VALU_DEP_4) | instskip(NEXT) | instid1(VALU_DEP_4)
	v_dual_mov_b32 v1, v10 :: v_dual_add_nc_u32 v42, 0x275, v94
	v_mad_co_u64_u32 v[6:7], null, s18, v18, 0
	s_delay_alu instid0(VALU_DEP_4) | instskip(NEXT) | instid1(VALU_DEP_4)
	v_lshlrev_b64_e32 v[8:9], 4, v[8:9]
	v_mov_b32_e32 v3, v16
	s_delay_alu instid0(VALU_DEP_4) | instskip(NEXT) | instid1(VALU_DEP_3)
	v_lshlrev_b64_e32 v[0:1], 4, v[0:1]
	v_mad_co_u64_u32 v[17:18], null, s19, v18, v[7:8]
	v_add_co_u32 v7, s0, s4, v8
	s_wait_alu 0xf1ff
	v_add_co_ci_u32_e64 v8, s0, s5, v9, s0
	v_lshlrev_b64_e32 v[2:3], 4, v[2:3]
	s_delay_alu instid0(VALU_DEP_3) | instskip(SKIP_1) | instid1(VALU_DEP_3)
	v_add_co_u32 v4, s0, v7, v4
	s_wait_alu 0xf1ff
	v_add_co_ci_u32_e64 v5, s0, v8, v5, s0
	v_dual_mov_b32 v7, v17 :: v_dual_add_nc_u32 v22, 0x20f, v94
	s_delay_alu instid0(VALU_DEP_3) | instskip(SKIP_1) | instid1(VALU_DEP_3)
	v_add_co_u32 v0, s0, v4, v0
	s_wait_alu 0xf1ff
	v_add_co_ci_u32_e64 v1, s0, v5, v1, s0
	v_add_co_u32 v8, s0, v4, v2
	s_wait_alu 0xf1ff
	v_add_co_ci_u32_e64 v9, s0, v5, v3, s0
	v_mad_co_u64_u32 v[16:17], null, s19, v98, v[11:12]
	s_clause 0x1
	global_load_b128 v[0:3], v[0:1], off
	global_load_b128 v[8:11], v[8:9], off
	v_mad_co_u64_u32 v[20:21], null, s18, v22, 0
	v_add_nc_u32_e32 v19, 0x121, v94
	v_lshlrev_b64_e32 v[6:7], 4, v[6:7]
	s_mov_b32 s4, exec_lo
	s_delay_alu instid0(VALU_DEP_2) | instskip(NEXT) | instid1(VALU_DEP_2)
	v_mad_co_u64_u32 v[14:15], null, s18, v19, 0
	v_add_co_u32 v6, s0, v4, v6
	s_wait_alu 0xf1ff
	s_delay_alu instid0(VALU_DEP_3) | instskip(NEXT) | instid1(VALU_DEP_3)
	v_add_co_ci_u32_e64 v7, s0, v5, v7, s0
	v_mov_b32_e32 v13, v15
	s_delay_alu instid0(VALU_DEP_1) | instskip(SKIP_1) | instid1(VALU_DEP_1)
	v_mad_co_u64_u32 v[17:18], null, s19, v19, v[13:14]
	v_dual_mov_b32 v13, v16 :: v_dual_mov_b32 v16, v21
	v_lshlrev_b64_e32 v[12:13], 4, v[12:13]
	s_delay_alu instid0(VALU_DEP_3) | instskip(NEXT) | instid1(VALU_DEP_3)
	v_mov_b32_e32 v15, v17
	v_mad_co_u64_u32 v[21:22], null, s19, v22, v[16:17]
	s_delay_alu instid0(VALU_DEP_3) | instskip(NEXT) | instid1(VALU_DEP_3)
	v_add_co_u32 v16, s0, v4, v12
	v_lshlrev_b64_e32 v[22:23], 4, v[14:15]
	s_wait_alu 0xf1ff
	v_add_co_ci_u32_e64 v17, s0, v5, v13, s0
	s_clause 0x1
	global_load_b128 v[12:15], v[6:7], off
	global_load_b128 v[16:19], v[16:17], off
	v_add_co_u32 v6, s0, v4, v22
	v_mov_b32_e32 v22, v25
	v_lshlrev_b64_e32 v[20:21], 4, v[20:21]
	s_wait_alu 0xf1ff
	v_add_co_ci_u32_e64 v7, s0, v5, v23, s0
	s_delay_alu instid0(VALU_DEP_3) | instskip(SKIP_3) | instid1(VALU_DEP_4)
	v_mad_co_u64_u32 v[22:23], null, s19, v100, v[22:23]
	v_mov_b32_e32 v23, v27
	v_mad_co_u64_u32 v[32:33], null, s18, v36, 0
	v_add_co_u32 v20, s0, v4, v20
	v_dual_mov_b32 v25, v22 :: v_dual_add_nc_u32 v102, 0x99, v94
	s_wait_alu 0xf1ff
	v_add_co_ci_u32_e64 v21, s0, v5, v21, s0
	v_mad_co_u64_u32 v[27:28], null, s19, v28, v[23:24]
	s_delay_alu instid0(VALU_DEP_3)
	v_mad_co_u64_u32 v[34:35], null, s18, v102, 0
	s_clause 0x1
	global_load_b128 v[28:31], v[6:7], off
	global_load_b128 v[20:23], v[20:21], off
	v_mov_b32_e32 v6, v33
	v_lshlrev_b64_e32 v[24:25], 4, v[24:25]
	v_lshlrev_b64_e32 v[26:27], 4, v[26:27]
	s_delay_alu instid0(VALU_DEP_3)
	v_mad_co_u64_u32 v[6:7], null, s19, v36, v[6:7]
	v_mad_co_u64_u32 v[36:37], null, s18, v41, 0
	v_mov_b32_e32 v7, v35
	v_add_co_u32 v24, s0, v4, v24
	s_wait_alu 0xf1ff
	v_add_co_ci_u32_e64 v25, s0, v5, v25, s0
	v_mov_b32_e32 v33, v6
	v_add_co_u32 v26, s0, v4, v26
	s_wait_alu 0xf1ff
	v_add_co_ci_u32_e64 v27, s0, v5, v27, s0
	s_delay_alu instid0(VALU_DEP_3) | instskip(SKIP_4) | instid1(VALU_DEP_3)
	v_lshlrev_b64_e32 v[32:33], 4, v[32:33]
	s_wait_loadcnt 0x4
	v_mad_co_u64_u32 v[38:39], null, s19, v102, v[7:8]
	v_mad_co_u64_u32 v[39:40], null, s18, v42, 0
	v_mov_b32_e32 v7, v37
	v_mov_b32_e32 v35, v38
	s_delay_alu instid0(VALU_DEP_2) | instskip(NEXT) | instid1(VALU_DEP_4)
	v_mad_co_u64_u32 v[6:7], null, s19, v41, v[7:8]
	v_mov_b32_e32 v7, v40
	s_delay_alu instid0(VALU_DEP_3) | instskip(NEXT) | instid1(VALU_DEP_2)
	v_lshlrev_b64_e32 v[34:35], 4, v[34:35]
	v_mad_co_u64_u32 v[40:41], null, s19, v42, v[7:8]
	s_delay_alu instid0(VALU_DEP_4) | instskip(SKIP_3) | instid1(VALU_DEP_3)
	v_mov_b32_e32 v37, v6
	v_add_co_u32 v6, s0, v4, v32
	s_wait_alu 0xf1ff
	v_add_co_ci_u32_e64 v7, s0, v5, v33, s0
	v_lshlrev_b64_e32 v[32:33], 4, v[36:37]
	v_add_co_u32 v34, s0, v4, v34
	v_lshlrev_b64_e32 v[36:37], 4, v[39:40]
	s_wait_alu 0xf1ff
	v_add_co_ci_u32_e64 v35, s0, v5, v35, s0
	s_delay_alu instid0(VALU_DEP_4)
	v_add_co_u32 v32, s0, v4, v32
	s_wait_alu 0xf1ff
	v_add_co_ci_u32_e64 v33, s0, v5, v33, s0
	v_add_co_u32 v36, s0, v4, v36
	s_wait_alu 0xf1ff
	v_add_co_ci_u32_e64 v37, s0, v5, v37, s0
	s_clause 0x5
	global_load_b128 v[72:75], v[24:25], off
	global_load_b128 v[76:79], v[26:27], off
	;; [unrolled: 1-line block ×6, first 2 shown]
	v_cmpx_gt_u32_e32 34, v94
	s_cbranch_execz .LBB0_14
; %bb.13:
	v_add_nc_u32_e32 v32, 0xcc, v94
	v_add_nc_u32_e32 v35, 0x2a8, v94
	s_delay_alu instid0(VALU_DEP_2) | instskip(NEXT) | instid1(VALU_DEP_2)
	v_mad_co_u64_u32 v[6:7], null, s18, v32, 0
	v_mad_co_u64_u32 v[26:27], null, s18, v35, 0
	s_delay_alu instid0(VALU_DEP_2) | instskip(NEXT) | instid1(VALU_DEP_1)
	v_mad_co_u64_u32 v[32:33], null, s19, v32, v[7:8]
	v_dual_mov_b32 v7, v32 :: v_dual_add_nc_u32 v34, 0x1ba, v94
	s_delay_alu instid0(VALU_DEP_1) | instskip(NEXT) | instid1(VALU_DEP_2)
	v_mad_co_u64_u32 v[24:25], null, s18, v34, 0
	v_lshlrev_b64_e32 v[6:7], 4, v[6:7]
	s_delay_alu instid0(VALU_DEP_2) | instskip(SKIP_2) | instid1(VALU_DEP_3)
	v_mad_co_u64_u32 v[33:34], null, s19, v34, v[25:26]
	s_wait_loadcnt 0x7
	v_mad_co_u64_u32 v[34:35], null, s19, v35, v[27:28]
	v_add_co_u32 v6, s0, v4, v6
	s_wait_alu 0xf1ff
	v_add_co_ci_u32_e64 v7, s0, v5, v7, s0
	s_delay_alu instid0(VALU_DEP_4) | instskip(NEXT) | instid1(VALU_DEP_4)
	v_mov_b32_e32 v25, v33
	v_mov_b32_e32 v27, v34
	s_delay_alu instid0(VALU_DEP_2) | instskip(NEXT) | instid1(VALU_DEP_2)
	v_lshlrev_b64_e32 v[24:25], 4, v[24:25]
	v_lshlrev_b64_e32 v[26:27], 4, v[26:27]
	s_delay_alu instid0(VALU_DEP_2) | instskip(SKIP_1) | instid1(VALU_DEP_3)
	v_add_co_u32 v24, s0, v4, v24
	s_wait_alu 0xf1ff
	v_add_co_ci_u32_e64 v25, s0, v5, v25, s0
	s_delay_alu instid0(VALU_DEP_3)
	v_add_co_u32 v4, s0, v4, v26
	s_wait_alu 0xf1ff
	v_add_co_ci_u32_e64 v5, s0, v5, v27, s0
	s_clause 0x2
	global_load_b128 v[84:87], v[6:7], off
	global_load_b128 v[88:91], v[24:25], off
	;; [unrolled: 1-line block ×3, first 2 shown]
.LBB0_14:
	s_wait_alu 0xfffe
	s_or_b32 exec_lo, exec_lo, s4
.LBB0_15:
	s_delay_alu instid0(SALU_CYCLE_1)
	s_or_b32 exec_lo, exec_lo, s1
	s_wait_loadcnt 0x9
	v_add_f64_e32 v[4:5], v[12:13], v[8:9]
	s_wait_loadcnt 0x6
	v_add_f64_e32 v[6:7], v[20:21], v[28:29]
	s_wait_loadcnt 0x3
	v_add_f64_e32 v[24:25], v[56:57], v[76:77]
	s_wait_loadcnt 0x0
	v_add_f64_e32 v[26:27], v[60:61], v[68:69]
	v_add_f64_e32 v[32:33], v[80:81], v[88:89]
	v_add_f64_e32 v[34:35], v[8:9], v[0:1]
	v_add_f64_e64 v[36:37], v[10:11], -v[14:15]
	v_add_f64_e32 v[38:39], v[28:29], v[16:17]
	v_add_f64_e32 v[40:41], v[76:77], v[72:73]
	;; [unrolled: 1-line block ×4, first 2 shown]
	v_add_f64_e64 v[46:47], v[30:31], -v[22:23]
	v_add_f64_e64 v[48:49], v[78:79], -v[58:59]
	;; [unrolled: 1-line block ×3, first 2 shown]
	s_mov_b32 s0, 0xe8584caa
	s_mov_b32 s1, 0xbfebb67a
	s_mov_b32 s5, 0x3febb67a
	s_wait_alu 0xfffe
	s_mov_b32 s4, s0
	v_fma_f64 v[0:1], v[4:5], -0.5, v[0:1]
	v_fma_f64 v[16:17], v[6:7], -0.5, v[16:17]
	v_fma_f64 v[50:51], v[24:25], -0.5, v[72:73]
	v_fma_f64 v[26:27], v[26:27], -0.5, v[64:65]
	v_add_f64_e64 v[64:65], v[90:91], -v[82:83]
	v_fma_f64 v[107:108], v[32:33], -0.5, v[84:85]
	v_add_f64_e32 v[4:5], v[12:13], v[34:35]
	v_add_f64_e32 v[72:73], v[20:21], v[38:39]
	;; [unrolled: 1-line block ×5, first 2 shown]
	v_fma_f64 v[6:7], v[36:37], s[0:1], v[0:1]
	s_wait_alu 0xfffe
	v_fma_f64 v[40:41], v[36:37], s[4:5], v[0:1]
	v_fma_f64 v[84:85], v[46:47], s[0:1], v[16:17]
	;; [unrolled: 1-line block ×9, first 2 shown]
	v_mad_u32_u24 v64, v94, 24, 0
	v_cmp_gt_u32_e64 s1, 34, v94
	v_mad_i32_i24 v0, v98, 24, 0
	v_mad_i32_i24 v1, v100, 24, 0
	;; [unrolled: 1-line block ×3, first 2 shown]
	v_add_nc_u32_e32 v65, 0x1320, v64
	ds_store_2addr_b64 v64, v[4:5], v[6:7] offset1:1
	ds_store_b64 v64, v[40:41] offset:16
	ds_store_2addr_b64 v0, v[72:73], v[84:85] offset1:1
	ds_store_b64 v0, v[34:35] offset:16
	;; [unrolled: 2-line block ×4, first 2 shown]
	s_and_saveexec_b32 s0, s1
	s_cbranch_execz .LBB0_17
; %bb.16:
	ds_store_2addr_b64 v65, v[24:25], v[26:27] offset1:1
	ds_store_b64 v64, v[36:37] offset:4912
.LBB0_17:
	s_wait_alu 0xfffe
	s_or_b32 exec_lo, exec_lo, s0
	v_mul_i32_i24_e32 v101, 24, v98
	v_mul_i32_i24_e32 v99, 24, v100
	;; [unrolled: 1-line block ×3, first 2 shown]
	v_cmp_gt_u32_e64 s0, 42, v94
	global_wb scope:SCOPE_SE
	s_wait_dscnt 0x0
	s_wait_kmcnt 0x0
	s_barrier_signal -1
	s_barrier_wait -1
	global_inv scope:SCOPE_SE
                                        ; implicit-def: $vgpr105_vgpr106
	s_and_saveexec_b32 s4, s0
	s_cbranch_execz .LBB0_19
; %bb.18:
	v_lshlrev_b32_e32 v0, 4, v94
	s_delay_alu instid0(VALU_DEP_1)
	v_sub_nc_u32_e32 v0, v64, v0
	ds_load_2addr_b64 v[40:43], v0 offset0:84 offset1:126
	ds_load_2addr_b64 v[32:35], v0 offset0:168 offset1:210
	v_add_nc_u32_e32 v1, 0x800, v0
	s_wait_dscnt 0x1
	v_mov_b32_e32 v73, v43
	s_wait_dscnt 0x0
	v_dual_mov_b32 v85, v33 :: v_dual_mov_b32 v84, v32
	ds_load_2addr_b64 v[44:47], v1 offset0:164 offset1:206
	ds_load_2addr_b64 v[48:51], v1 offset0:80 offset1:122
	v_add_nc_u32_e32 v16, 0x400, v0
	v_add_nc_u32_e32 v17, 0xc00, v0
	v_dual_mov_b32 v72, v42 :: v_dual_add_nc_u32 v1, 0x1000, v0
	s_wait_dscnt 0x1
	v_mov_b32_e32 v104, v45
	s_wait_dscnt 0x0
	v_dual_mov_b32 v32, v50 :: v_dual_mov_b32 v103, v44
	ds_load_2addr_b64 v[4:7], v0 offset1:42
	ds_load_b64 v[105:106], v0 offset:5376
	ds_load_2addr_b64 v[52:55], v16 offset0:124 offset1:166
	ds_load_2addr_b64 v[24:27], v17 offset0:120 offset1:162
	;; [unrolled: 1-line block ×3, first 2 shown]
	v_mov_b32_e32 v33, v51
.LBB0_19:
	s_wait_alu 0xfffe
	s_or_b32 exec_lo, exec_lo, s4
	v_add_f64_e32 v[0:1], v[14:15], v[10:11]
	v_add_f64_e32 v[16:17], v[22:23], v[30:31]
	;; [unrolled: 1-line block ×6, first 2 shown]
	v_add_f64_e64 v[12:13], v[8:9], -v[12:13]
	v_add_f64_e32 v[8:9], v[30:31], v[18:19]
	v_add_f64_e32 v[30:31], v[78:79], v[74:75]
	;; [unrolled: 1-line block ×4, first 2 shown]
	v_add_f64_e64 v[20:21], v[28:29], -v[20:21]
	v_add_f64_e64 v[28:29], v[76:77], -v[56:57]
	v_add_f64_e64 v[60:61], v[68:69], -v[60:61]
	s_mov_b32 s4, 0xe8584caa
	s_mov_b32 s5, 0x3febb67a
	;; [unrolled: 1-line block ×3, first 2 shown]
	s_wait_alu 0xfffe
	s_mov_b32 s10, s4
	global_wb scope:SCOPE_SE
	s_wait_dscnt 0x0
	s_barrier_signal -1
	s_barrier_wait -1
	global_inv scope:SCOPE_SE
	v_fma_f64 v[90:91], v[0:1], -0.5, v[2:3]
	v_fma_f64 v[18:19], v[16:17], -0.5, v[18:19]
	;; [unrolled: 1-line block ×4, first 2 shown]
	v_add_f64_e64 v[66:67], v[88:89], -v[80:81]
	v_fma_f64 v[50:51], v[50:51], -0.5, v[86:87]
	v_add_f64_e32 v[0:1], v[14:15], v[10:11]
	v_add_f64_e32 v[14:15], v[22:23], v[8:9]
	;; [unrolled: 1-line block ×5, first 2 shown]
	v_add_nc_u32_e32 v22, 0, v101
	v_add_nc_u32_e32 v23, 0, v99
	v_fma_f64 v[2:3], v[12:13], s[4:5], v[90:91]
	s_wait_alu 0xfffe
	v_fma_f64 v[12:13], v[12:13], s[10:11], v[90:91]
	v_fma_f64 v[68:69], v[20:21], s[4:5], v[18:19]
	;; [unrolled: 1-line block ×9, first 2 shown]
	v_add_nc_u32_e32 v44, 0, v95
	ds_store_2addr_b64 v64, v[0:1], v[2:3] offset1:1
	ds_store_b64 v64, v[12:13] offset:16
	ds_store_2addr_b64 v22, v[14:15], v[68:69] offset1:1
	ds_store_b64 v22, v[18:19] offset:16
	;; [unrolled: 2-line block ×4, first 2 shown]
	s_and_saveexec_b32 s4, s1
	s_cbranch_execz .LBB0_21
; %bb.20:
	ds_store_2addr_b64 v65, v[8:9], v[10:11] offset1:1
	ds_store_b64 v64, v[20:21] offset:4912
.LBB0_21:
	s_wait_alu 0xfffe
	s_or_b32 exec_lo, exec_lo, s4
	v_lshl_add_u32 v107, v94, 3, 0
	global_wb scope:SCOPE_SE
	s_wait_dscnt 0x0
	s_barrier_signal -1
	s_barrier_wait -1
	global_inv scope:SCOPE_SE
                                        ; implicit-def: $vgpr90_vgpr91
	s_and_saveexec_b32 s1, s0
	s_cbranch_execz .LBB0_23
; %bb.22:
	ds_load_2addr_b64 v[12:15], v107 offset0:84 offset1:126
	ds_load_2addr_b64 v[16:19], v107 offset0:168 offset1:210
	v_add_nc_u32_e32 v0, 0x800, v107
	v_add_nc_u32_e32 v9, 0xc00, v107
	s_wait_dscnt 0x0
	v_dual_mov_b32 v69, v17 :: v_dual_add_nc_u32 v20, 0x1000, v107
	v_mov_b32_e32 v68, v16
	ds_load_2addr_b64 v[28:31], v0 offset0:164 offset1:206
	ds_load_2addr_b64 v[42:45], v0 offset0:80 offset1:122
	v_add_nc_u32_e32 v8, 0x400, v107
	s_wait_dscnt 0x0
	v_dual_mov_b32 v16, v44 :: v_dual_mov_b32 v17, v45
	ds_load_2addr_b64 v[0:3], v107 offset1:42
	ds_load_b64 v[90:91], v107 offset:5376
	ds_load_2addr_b64 v[56:59], v8 offset0:124 offset1:166
	ds_load_2addr_b64 v[8:11], v9 offset0:120 offset1:162
	;; [unrolled: 1-line block ×3, first 2 shown]
.LBB0_23:
	s_wait_alu 0xfffe
	s_or_b32 exec_lo, exec_lo, s1
	v_and_b32_e32 v44, 0xff, v94
	s_delay_alu instid0(VALU_DEP_1) | instskip(NEXT) | instid1(VALU_DEP_1)
	v_mul_lo_u16 v44, 0xab, v44
	v_lshrrev_b16 v95, 9, v44
	s_delay_alu instid0(VALU_DEP_1) | instskip(SKIP_1) | instid1(VALU_DEP_2)
	v_mul_lo_u16 v44, v95, 3
	v_and_b32_e32 v95, 0xffff, v95
	v_sub_nc_u16 v44, v94, v44
	s_delay_alu instid0(VALU_DEP_1) | instskip(NEXT) | instid1(VALU_DEP_1)
	v_and_b32_e32 v99, 0xff, v44
	v_lshlrev_b32_e32 v44, 8, v99
	v_lshlrev_b32_e32 v99, 3, v99
	s_clause 0xf
	global_load_b128 v[60:63], v44, s[8:9] offset:16
	global_load_b128 v[74:77], v44, s[8:9] offset:64
	;; [unrolled: 1-line block ×10, first 2 shown]
	global_load_b128 v[132:135], v44, s[8:9]
	global_load_b128 v[136:139], v44, s[8:9] offset:176
	global_load_b128 v[140:143], v44, s[8:9] offset:192
	;; [unrolled: 1-line block ×5, first 2 shown]
	global_wb scope:SCOPE_SE
	s_wait_loadcnt_dscnt 0x0
	s_barrier_signal -1
	s_barrier_wait -1
	global_inv scope:SCOPE_SE
	v_mul_f64_e32 v[44:45], v[12:13], v[62:63]
	v_mul_f64_e32 v[50:51], v[40:41], v[62:63]
	;; [unrolled: 1-line block ×32, first 2 shown]
	v_fma_f64 v[76:77], v[40:41], v[60:61], v[44:45]
	v_fma_f64 v[82:83], v[12:13], v[60:61], -v[50:51]
	v_fma_f64 v[64:65], v[34:35], v[74:75], v[62:63]
	v_fma_f64 v[66:67], v[18:19], v[74:75], -v[66:67]
	;; [unrolled: 2-line block ×16, first 2 shown]
	s_and_saveexec_b32 s1, s0
	s_cbranch_execz .LBB0_25
; %bb.24:
	v_add_f64_e32 v[2:3], v[4:5], v[84:85]
	s_delay_alu instid0(VALU_DEP_2)
	v_add_f64_e64 v[6:7], v[86:87], -v[26:27]
	s_mov_b32 s26, 0xacd6c6b4
	s_mov_b32 s28, 0x4363dd80
	s_mov_b32 s30, 0x6c9a05f6
	s_mov_b32 s40, 0x923c349f
	s_mov_b32 s42, 0x7c9e640b
	s_mov_b32 s36, 0x2a9d6da3
	s_mov_b32 s27, 0xbfc7851a
	s_mov_b32 s29, 0xbfe0d888
	s_mov_b32 s38, 0xeb564b22
	s_mov_b32 s31, 0xbfe9895b
	s_mov_b32 s41, 0xbfeec746
	s_mov_b32 s43, 0x3feca52d
	s_mov_b32 s57, 0xbfeca52d
	s_mov_b32 s37, 0x3fe58eea
	s_mov_b32 s53, 0xbfe58eea
	s_mov_b32 s56, s42
	s_wait_alu 0xfffe
	s_mov_b32 s52, s36
	s_mov_b32 s39, 0x3fefdd0d
	;; [unrolled: 1-line block ×4, first 2 shown]
	v_add_f64_e64 v[8:9], v[82:83], -v[28:29]
	v_add_f64_e32 v[10:11], v[84:85], v[88:89]
	s_mov_b32 s34, 0x5d8e7cdc
	s_mov_b32 s35, 0x3fd71e95
	;; [unrolled: 1-line block ×3, first 2 shown]
	s_wait_alu 0xfffe
	s_mov_b32 s46, s34
	s_mov_b32 s12, 0xc61f0d01
	;; [unrolled: 1-line block ×11, first 2 shown]
	v_add_f64_e32 v[2:3], v[2:3], v[76:77]
	v_mul_f64_e32 v[114:115], s[26:27], v[6:7]
	v_mul_f64_e32 v[116:117], s[28:29], v[6:7]
	;; [unrolled: 1-line block ×8, first 2 shown]
	s_mov_b32 s51, 0x3feec746
	s_mov_b32 s55, 0x3fe0d888
	;; [unrolled: 1-line block ×8, first 2 shown]
	v_add_f64_e32 v[12:13], v[76:77], v[38:39]
	v_add_f64_e64 v[14:15], v[80:81], -v[30:31]
	s_mov_b32 s18, 0x370991
	s_mov_b32 s19, 0x3fedd6d0
	;; [unrolled: 1-line block ×3, first 2 shown]
	v_mul_f64_e32 v[128:129], s[34:35], v[8:9]
	v_mul_f64_e32 v[130:131], s[42:43], v[8:9]
	;; [unrolled: 1-line block ×8, first 2 shown]
	s_mov_b32 s58, s26
	v_add_f64_e32 v[16:17], v[78:79], v[36:37]
	v_add_f64_e64 v[18:19], v[72:73], -v[32:33]
	s_mov_b32 s49, 0x3fe9895b
	s_mov_b32 s48, s30
	v_add_f64_e32 v[20:21], v[70:71], v[74:75]
	v_add_f64_e64 v[22:23], v[66:67], -v[34:35]
	v_add_f64_e32 v[24:25], v[64:65], v[68:69]
	v_add_f64_e32 v[2:3], v[2:3], v[78:79]
	s_wait_alu 0xfffe
	v_fma_f64 v[168:169], v[10:11], s[4:5], -v[114:115]
	v_fma_f64 v[114:115], v[10:11], s[4:5], v[114:115]
	v_fma_f64 v[174:175], v[10:11], s[14:15], -v[116:117]
	v_fma_f64 v[116:117], v[10:11], s[14:15], v[116:117]
	;; [unrolled: 2-line block ×3, first 2 shown]
	v_fma_f64 v[182:183], v[10:11], s[12:13], v[120:121]
	v_fma_f64 v[184:185], v[10:11], s[22:23], v[122:123]
	;; [unrolled: 1-line block ×4, first 2 shown]
	v_fma_f64 v[120:121], v[10:11], s[12:13], -v[120:121]
	v_fma_f64 v[126:127], v[10:11], s[24:25], -v[126:127]
	;; [unrolled: 1-line block ×4, first 2 shown]
	v_fma_f64 v[190:191], v[10:11], s[18:19], v[6:7]
	v_fma_f64 v[6:7], v[10:11], s[18:19], -v[6:7]
	v_add_f64_e64 v[90:91], v[62:63], -v[40:41]
	v_mul_f64_e32 v[140:141], s[28:29], v[14:15]
	v_mul_f64_e32 v[144:145], s[44:45], v[14:15]
	;; [unrolled: 1-line block ×6, first 2 shown]
	v_fma_f64 v[196:197], v[12:13], s[18:19], -v[128:129]
	v_fma_f64 v[128:129], v[12:13], s[18:19], v[128:129]
	v_fma_f64 v[198:199], v[12:13], s[22:23], -v[130:131]
	v_fma_f64 v[130:131], v[12:13], s[22:23], v[130:131]
	;; [unrolled: 2-line block ×7, first 2 shown]
	v_add_f64_e32 v[2:3], v[2:3], v[70:71]
	v_fma_f64 v[210:211], v[12:13], s[20:21], -v[8:9]
	v_add_f64_e32 v[114:115], v[4:5], v[114:115]
	v_fma_f64 v[8:9], v[12:13], s[20:21], v[8:9]
	v_add_f64_e32 v[116:117], v[4:5], v[116:117]
	v_add_f64_e32 v[12:13], v[4:5], v[180:181]
	;; [unrolled: 1-line block ×6, first 2 shown]
	v_mul_f64_e32 v[150:151], s[50:51], v[14:15]
	v_add_f64_e32 v[168:169], v[4:5], v[168:169]
	v_add_f64_e32 v[186:187], v[4:5], v[188:189]
	;; [unrolled: 1-line block ×7, first 2 shown]
	v_mul_f64_e32 v[14:15], s[56:57], v[14:15]
	v_add_f64_e32 v[188:189], v[4:5], v[190:191]
	v_add_f64_e32 v[4:5], v[4:5], v[6:7]
	v_mul_f64_e32 v[156:157], s[36:37], v[18:19]
	v_mul_f64_e32 v[158:159], s[48:49], v[18:19]
	;; [unrolled: 1-line block ×6, first 2 shown]
	v_fma_f64 v[212:213], v[16:17], s[14:15], -v[140:141]
	v_fma_f64 v[140:141], v[16:17], s[14:15], v[140:141]
	v_fma_f64 v[6:7], v[16:17], s[24:25], -v[144:145]
	v_fma_f64 v[144:145], v[16:17], s[24:25], v[144:145]
	;; [unrolled: 2-line block ×5, first 2 shown]
	v_fma_f64 v[220:221], v[16:17], s[10:11], -v[154:155]
	v_add_f64_e32 v[2:3], v[2:3], v[64:65]
	v_fma_f64 v[154:155], v[16:17], s[10:11], v[154:155]
	v_add_f64_e32 v[114:115], v[128:129], v[114:115]
	v_mul_f64_e32 v[164:165], s[34:35], v[18:19]
	v_add_f64_e32 v[116:117], v[130:131], v[116:117]
	v_add_f64_e32 v[12:13], v[200:201], v[12:13]
	;; [unrolled: 1-line block ×6, first 2 shown]
	v_fma_f64 v[216:217], v[16:17], s[12:13], -v[150:151]
	v_fma_f64 v[150:151], v[16:17], s[12:13], v[150:151]
	v_add_f64_e32 v[168:169], v[196:197], v[168:169]
	v_add_f64_e32 v[136:137], v[136:137], v[186:187]
	;; [unrolled: 1-line block ×7, first 2 shown]
	v_fma_f64 v[222:223], v[16:17], s[22:23], -v[14:15]
	v_fma_f64 v[14:15], v[16:17], s[22:23], v[14:15]
	v_mul_f64_e32 v[18:19], s[44:45], v[18:19]
	v_add_f64_e32 v[8:9], v[8:9], v[188:189]
	v_add_f64_e32 v[4:5], v[210:211], v[4:5]
	v_mul_f64_e32 v[172:173], s[30:31], v[22:23]
	v_mul_f64_e32 v[176:177], s[46:47], v[22:23]
	;; [unrolled: 1-line block ×7, first 2 shown]
	v_fma_f64 v[186:187], v[20:21], s[20:21], -v[156:157]
	v_fma_f64 v[156:157], v[20:21], s[20:21], v[156:157]
	v_fma_f64 v[188:189], v[20:21], s[10:11], -v[158:159]
	v_fma_f64 v[158:159], v[20:21], s[10:11], v[158:159]
	;; [unrolled: 2-line block ×3, first 2 shown]
	v_fma_f64 v[202:203], v[20:21], s[22:23], -v[162:163]
	v_add_f64_e32 v[2:3], v[2:3], v[60:61]
	v_fma_f64 v[162:163], v[20:21], s[22:23], v[162:163]
	v_fma_f64 v[206:207], v[20:21], s[12:13], -v[166:167]
	v_fma_f64 v[166:167], v[20:21], s[12:13], v[166:167]
	v_fma_f64 v[208:209], v[20:21], s[4:5], -v[170:171]
	v_fma_f64 v[170:171], v[20:21], s[4:5], v[170:171]
	v_add_f64_e32 v[114:115], v[140:141], v[114:115]
	v_add_f64_e32 v[116:117], v[144:145], v[116:117]
	;; [unrolled: 1-line block ×6, first 2 shown]
	v_mul_f64_e32 v[22:23], s[40:41], v[22:23]
	v_fma_f64 v[204:205], v[20:21], s[18:19], -v[164:165]
	v_fma_f64 v[164:165], v[20:21], s[18:19], v[164:165]
	v_add_f64_e32 v[168:169], v[212:213], v[168:169]
	v_add_f64_e32 v[136:137], v[150:151], v[136:137]
	;; [unrolled: 1-line block ×8, first 2 shown]
	v_fma_f64 v[210:211], v[20:21], s[24:25], -v[18:19]
	v_fma_f64 v[18:19], v[20:21], s[24:25], v[18:19]
	v_add_f64_e32 v[8:9], v[14:15], v[8:9]
	v_add_f64_e32 v[4:5], v[222:223], v[4:5]
	;; [unrolled: 1-line block ×3, first 2 shown]
	v_add_f64_e64 v[105:106], v[50:51], -v[42:43]
	v_mul_f64_e32 v[196:197], s[42:43], v[90:91]
	v_mul_f64_e32 v[128:129], s[26:27], v[90:91]
	v_mul_f64_e32 v[198:199], s[52:53], v[90:91]
	v_mul_f64_e32 v[130:131], s[38:39], v[90:91]
	v_mul_f64_e32 v[142:143], s[28:29], v[90:91]
	v_mul_f64_e32 v[180:181], s[46:47], v[90:91]
	v_mul_f64_e32 v[182:183], s[50:51], v[90:91]
	v_mul_f64_e32 v[90:91], s[30:31], v[90:91]
	v_fma_f64 v[148:149], v[24:25], s[10:11], -v[172:173]
	v_add_f64_e32 v[2:3], v[2:3], v[54:55]
	v_fma_f64 v[150:151], v[24:25], s[10:11], v[172:173]
	v_fma_f64 v[152:153], v[24:25], s[18:19], -v[176:177]
	v_fma_f64 v[154:155], v[24:25], s[18:19], v[176:177]
	v_fma_f64 v[172:173], v[24:25], s[24:25], -v[178:179]
	;; [unrolled: 2-line block ×6, first 2 shown]
	v_fma_f64 v[16:17], v[24:25], s[14:15], v[16:17]
	v_add_f64_e32 v[114:115], v[156:157], v[114:115]
	v_add_f64_e32 v[116:117], v[158:159], v[116:117]
	;; [unrolled: 1-line block ×6, first 2 shown]
	v_fma_f64 v[214:215], v[24:25], s[12:13], -v[22:23]
	v_fma_f64 v[22:23], v[24:25], s[12:13], v[22:23]
	v_add_f64_e32 v[24:25], v[186:187], v[168:169]
	v_add_f64_e32 v[136:137], v[164:165], v[136:137]
	;; [unrolled: 1-line block ×11, first 2 shown]
	v_add_f64_e64 v[110:111], v[48:49], -v[44:45]
	v_mul_f64_e32 v[184:185], s[40:41], v[105:106]
	v_mul_f64_e32 v[20:21], s[36:37], v[105:106]
	;; [unrolled: 1-line block ×4, first 2 shown]
	v_add_f64_e32 v[2:3], v[2:3], v[52:53]
	v_mul_f64_e32 v[144:145], s[48:49], v[105:106]
	v_mul_f64_e32 v[146:147], s[44:45], v[105:106]
	;; [unrolled: 1-line block ×4, first 2 shown]
	v_fma_f64 v[162:163], v[103:104], s[22:23], -v[196:197]
	v_fma_f64 v[164:165], v[103:104], s[22:23], v[196:197]
	v_fma_f64 v[166:167], v[103:104], s[4:5], -v[128:129]
	v_fma_f64 v[128:129], v[103:104], s[4:5], v[128:129]
	;; [unrolled: 2-line block ×8, first 2 shown]
	v_add_f64_e32 v[103:104], v[150:151], v[114:115]
	v_add_f64_e32 v[114:115], v[154:155], v[116:117]
	;; [unrolled: 1-line block ×18, first 2 shown]
	v_mul_f64_e32 v[158:159], s[40:41], v[110:111]
	v_mul_f64_e32 v[22:23], s[30:31], v[110:111]
	;; [unrolled: 1-line block ×4, first 2 shown]
	v_fma_f64 v[148:149], v[108:109], s[12:13], -v[184:185]
	v_fma_f64 v[150:151], v[108:109], s[12:13], v[184:185]
	v_fma_f64 v[152:153], v[108:109], s[20:21], -v[20:21]
	v_fma_f64 v[20:21], v[108:109], s[20:21], v[20:21]
	;; [unrolled: 2-line block ×5, first 2 shown]
	v_fma_f64 v[176:177], v[108:109], s[24:25], v[146:147]
	v_fma_f64 v[178:179], v[108:109], s[22:23], v[18:19]
	v_fma_f64 v[146:147], v[108:109], s[24:25], -v[146:147]
	v_fma_f64 v[18:19], v[108:109], s[22:23], -v[18:19]
	;; [unrolled: 1-line block ×3, first 2 shown]
	v_fma_f64 v[105:106], v[108:109], s[14:15], v[105:106]
	v_mul_f64_e32 v[156:157], s[38:39], v[110:111]
	v_add_f64_e32 v[108:109], v[128:129], v[114:115]
	v_add_f64_e32 v[114:115], v[170:171], v[116:117]
	;; [unrolled: 1-line block ×5, first 2 shown]
	v_mul_f64_e32 v[160:161], s[42:43], v[110:111]
	v_mul_f64_e32 v[134:135], s[36:37], v[110:111]
	;; [unrolled: 1-line block ×3, first 2 shown]
	v_add_f64_e32 v[24:25], v[162:163], v[24:25]
	v_add_f64_e32 v[103:104], v[164:165], v[103:104]
	;; [unrolled: 1-line block ×12, first 2 shown]
	v_fma_f64 v[130:131], v[112:113], s[12:13], -v[158:159]
	v_fma_f64 v[132:133], v[112:113], s[12:13], v[158:159]
	v_fma_f64 v[158:159], v[112:113], s[10:11], -v[22:23]
	v_fma_f64 v[22:23], v[112:113], s[10:11], v[22:23]
	;; [unrolled: 2-line block ×4, first 2 shown]
	v_mul_u32_u24_e32 v101, 0x198, v95
	s_delay_alu instid0(VALU_DEP_1)
	v_add3_u32 v101, 0, v101, v99
	v_fma_f64 v[90:91], v[112:113], s[24:25], -v[156:157]
	v_add_f64_e32 v[20:21], v[20:21], v[108:109]
	v_fma_f64 v[128:129], v[112:113], s[24:25], v[156:157]
	v_add_f64_e32 v[10:11], v[140:141], v[10:11]
	v_add_f64_e32 v[108:109], v[176:177], v[116:117]
	;; [unrolled: 1-line block ×3, first 2 shown]
	v_fma_f64 v[142:143], v[112:113], s[22:23], -v[160:161]
	v_fma_f64 v[156:157], v[112:113], s[22:23], v[160:161]
	v_fma_f64 v[160:161], v[112:113], s[20:21], -v[134:135]
	v_fma_f64 v[134:135], v[112:113], s[20:21], v[134:135]
	;; [unrolled: 2-line block ×3, first 2 shown]
	v_add_f64_e32 v[24:25], v[148:149], v[24:25]
	v_add_f64_e32 v[103:104], v[150:151], v[103:104]
	;; [unrolled: 1-line block ×31, first 2 shown]
	s_delay_alu instid0(VALU_DEP_1) | instskip(NEXT) | instid1(VALU_DEP_1)
	v_add_f64_e32 v[2:3], v[2:3], v[36:37]
	v_add_f64_e32 v[2:3], v[2:3], v[38:39]
	s_delay_alu instid0(VALU_DEP_1)
	v_add_f64_e32 v[2:3], v[2:3], v[88:89]
	ds_store_2addr_b64 v101, v[16:17], v[22:23] offset0:6 offset1:9
	ds_store_2addr_b64 v101, v[103:104], v[10:11] offset0:12 offset1:15
	;; [unrolled: 1-line block ×7, first 2 shown]
	ds_store_2addr_b64 v101, v[2:3], v[8:9] offset1:3
	ds_store_b64 v101, v[4:5] offset:384
.LBB0_25:
	s_wait_alu 0xfffe
	s_or_b32 exec_lo, exec_lo, s1
	v_add_nc_u32_e32 v101, 0x800, v107
	v_add_nc_u32_e32 v108, 0xc00, v107
	v_add_nc_u32_e32 v109, 0x1000, v107
	v_lshl_add_u32 v105, v100, 3, 0
	v_lshl_add_u32 v106, v98, 3, 0
	global_wb scope:SCOPE_SE
	s_wait_dscnt 0x0
	s_barrier_signal -1
	s_barrier_wait -1
	global_inv scope:SCOPE_SE
	ds_load_2addr_b64 v[2:5], v107 offset1:153
	ds_load_2addr_b64 v[14:17], v107 offset0:204 offset1:255
	ds_load_2addr_b64 v[10:13], v101 offset0:50 offset1:101
	;; [unrolled: 1-line block ×5, first 2 shown]
	ds_load_b64 v[103:104], v105
	ds_load_b64 v[90:91], v106
	global_wb scope:SCOPE_SE
	s_wait_dscnt 0x0
	s_barrier_signal -1
	s_barrier_wait -1
	global_inv scope:SCOPE_SE
	s_and_saveexec_b32 s33, s0
	s_cbranch_execz .LBB0_27
; %bb.26:
	v_add_f64_e32 v[110:111], v[0:1], v[86:87]
	v_add_f64_e32 v[86:87], v[86:87], v[26:27]
	v_add_f64_e64 v[84:85], v[84:85], -v[88:89]
	s_mov_b32 s40, 0x370991
	s_mov_b32 s26, 0x75d4884
	;; [unrolled: 1-line block ×15, first 2 shown]
	v_add_f64_e64 v[70:71], v[70:71], -v[74:75]
	v_add_f64_e64 v[64:65], v[64:65], -v[68:69]
	;; [unrolled: 1-line block ×3, first 2 shown]
	s_mov_b32 s57, 0xbfef7484
	v_add_f64_e64 v[38:39], v[76:77], -v[38:39]
	v_add_f64_e64 v[36:37], v[78:79], -v[36:37]
	v_add_f64_e64 v[58:59], v[60:61], -v[58:59]
	v_add_f64_e32 v[60:61], v[50:51], v[42:43]
	s_mov_b32 s0, 0x5d8e7cdc
	s_mov_b32 s10, 0x2a9d6da3
	s_mov_b32 s14, 0x7c9e640b
	s_mov_b32 s1, 0x3fd71e95
	s_mov_b32 s11, 0x3fe58eea
	s_mov_b32 s13, 0xbfe58eea
	s_mov_b32 s15, 0x3feca52d
	s_mov_b32 s20, 0xeb564b22
	s_mov_b32 s24, 0x923c349f
	s_wait_alu 0xfffe
	s_mov_b32 s12, s10
	s_mov_b32 s21, 0x3fefdd0d
	;; [unrolled: 1-line block ×3, first 2 shown]
	v_add_f64_e32 v[110:111], v[110:111], v[82:83]
	v_add_f64_e32 v[82:83], v[82:83], v[28:29]
	v_mul_f64_e32 v[52:53], s[40:41], v[86:87]
	v_mul_f64_e32 v[68:69], s[26:27], v[86:87]
	;; [unrolled: 1-line block ×6, first 2 shown]
	s_mov_b32 s25, 0x3feec746
	s_mov_b32 s36, 0x6c9a05f6
	s_mov_b32 s46, 0x4363dd80
	s_mov_b32 s22, s20
	s_mov_b32 s37, 0x3fe9895b
	s_mov_b32 s39, 0xbfe9895b
	s_mov_b32 s47, 0x3fe0d888
	s_mov_b32 s50, 0xacd6c6b4
	s_wait_alu 0xfffe
	s_mov_b32 s38, s36
	s_mov_b32 s51, 0x3fc7851a
	;; [unrolled: 1-line block ×12, first 2 shown]
	v_add_f64_e64 v[54:55], v[54:55], -v[56:57]
	v_add_f64_e32 v[56:57], v[48:49], v[44:45]
	v_add_f64_e32 v[110:111], v[110:111], v[80:81]
	;; [unrolled: 1-line block ×3, first 2 shown]
	v_mul_f64_e32 v[114:115], s[26:27], v[82:83]
	v_mul_f64_e32 v[116:117], s[34:35], v[82:83]
	;; [unrolled: 1-line block ×6, first 2 shown]
	v_fma_f64 v[158:159], v[84:85], s[0:1], v[52:53]
	v_fma_f64 v[160:161], v[84:85], s[10:11], v[68:69]
	;; [unrolled: 1-line block ×8, first 2 shown]
	s_wait_alu 0xfffe
	v_fma_f64 v[112:113], v[84:85], s[48:49], v[112:113]
	v_fma_f64 v[78:79], v[84:85], s[28:29], v[78:79]
	;; [unrolled: 1-line block ×3, first 2 shown]
	v_add_f64_e32 v[110:111], v[110:111], v[72:73]
	v_add_f64_e32 v[72:73], v[72:73], v[32:33]
	v_mul_f64_e32 v[126:127], s[30:31], v[80:81]
	v_mul_f64_e32 v[128:129], s[44:45], v[80:81]
	;; [unrolled: 1-line block ×8, first 2 shown]
	v_fma_f64 v[180:181], v[38:39], s[10:11], v[114:115]
	v_fma_f64 v[114:115], v[38:39], s[12:13], v[114:115]
	v_fma_f64 v[182:183], v[38:39], s[20:21], v[116:117]
	v_fma_f64 v[116:117], v[38:39], s[22:23], v[116:117]
	v_fma_f64 v[184:185], v[38:39], s[36:37], v[118:119]
	v_fma_f64 v[118:119], v[38:39], s[38:39], v[118:119]
	v_fma_f64 v[186:187], v[38:39], s[50:51], v[120:121]
	v_fma_f64 v[120:121], v[38:39], s[52:53], v[120:121]
	v_fma_f64 v[190:191], v[38:39], s[28:29], v[122:123]
	v_fma_f64 v[122:123], v[38:39], s[24:25], v[122:123]
	v_fma_f64 v[192:193], v[38:39], s[18:19], v[124:125]
	v_fma_f64 v[124:125], v[38:39], s[14:15], v[124:125]
	v_add_f64_e32 v[68:69], v[0:1], v[68:69]
	v_add_f64_e32 v[76:77], v[0:1], v[76:77]
	;; [unrolled: 1-line block ×7, first 2 shown]
	v_mul_f64_e32 v[140:141], s[34:35], v[72:73]
	v_mul_f64_e32 v[142:143], s[56:57], v[72:73]
	;; [unrolled: 1-line block ×8, first 2 shown]
	v_fma_f64 v[198:199], v[36:37], s[14:15], v[126:127]
	v_fma_f64 v[126:127], v[36:37], s[18:19], v[126:127]
	;; [unrolled: 1-line block ×16, first 2 shown]
	v_add_f64_e32 v[68:69], v[116:117], v[68:69]
	v_add_f64_e32 v[76:77], v[120:121], v[76:77]
	;; [unrolled: 1-line block ×4, first 2 shown]
	v_mul_f64_e32 v[110:111], s[44:45], v[86:87]
	v_mul_f64_e32 v[86:87], s[56:57], v[86:87]
	v_add_f64_e32 v[62:63], v[62:63], v[40:41]
	v_mul_f64_e32 v[154:155], s[42:43], v[66:67]
	v_mul_f64_e32 v[156:157], s[54:55], v[66:67]
	;; [unrolled: 1-line block ×5, first 2 shown]
	v_fma_f64 v[118:119], v[70:71], s[20:21], v[140:141]
	v_add_f64_e32 v[68:69], v[128:129], v[68:69]
	v_add_f64_e32 v[76:77], v[132:133], v[76:77]
	;; [unrolled: 1-line block ×3, first 2 shown]
	v_mul_f64_e32 v[130:131], s[40:41], v[60:61]
	v_add_f64_e32 v[50:51], v[88:89], v[50:51]
	v_mul_f64_e32 v[88:89], s[54:55], v[82:83]
	v_mul_f64_e32 v[82:83], s[40:41], v[82:83]
	v_fma_f64 v[168:169], v[84:85], s[36:37], v[110:111]
	v_fma_f64 v[110:111], v[84:85], s[38:39], v[110:111]
	;; [unrolled: 1-line block ×4, first 2 shown]
	v_mul_f64_e32 v[196:197], s[54:55], v[62:63]
	v_add_f64_e32 v[48:49], v[50:51], v[48:49]
	v_fma_f64 v[50:51], v[84:85], s[4:5], v[52:53]
	v_fma_f64 v[188:189], v[38:39], s[48:49], v[88:89]
	;; [unrolled: 1-line block ×5, first 2 shown]
	v_add_f64_e32 v[82:83], v[0:1], v[158:159]
	v_add_f64_e32 v[158:159], v[0:1], v[160:161]
	;; [unrolled: 1-line block ×10, first 2 shown]
	v_mul_f64_e32 v[52:53], s[26:27], v[66:67]
	v_mul_f64_e32 v[84:85], s[30:31], v[66:67]
	;; [unrolled: 1-line block ×3, first 2 shown]
	v_add_f64_e32 v[44:45], v[48:49], v[44:45]
	v_add_f64_e32 v[0:1], v[0:1], v[50:51]
	v_mul_f64_e32 v[48:49], s[44:45], v[66:67]
	v_add_f64_e32 v[78:79], v[88:89], v[78:79]
	v_mul_f64_e32 v[50:51], s[44:45], v[62:63]
	v_mul_f64_e32 v[66:67], s[42:43], v[62:63]
	v_add_f64_e32 v[80:81], v[180:181], v[82:83]
	v_add_f64_e32 v[82:83], v[182:183], v[158:159]
	;; [unrolled: 1-line block ×11, first 2 shown]
	v_fma_f64 v[124:125], v[70:71], s[22:23], v[140:141]
	v_fma_f64 v[140:141], v[70:71], s[50:51], v[142:143]
	;; [unrolled: 1-line block ×15, first 2 shown]
	v_mul_f64_e32 v[88:89], s[26:27], v[62:63]
	v_mul_f64_e32 v[112:113], s[56:57], v[62:63]
	v_fma_f64 v[184:185], v[64:65], s[22:23], v[176:177]
	v_fma_f64 v[176:177], v[64:65], s[20:21], v[176:177]
	;; [unrolled: 1-line block ×4, first 2 shown]
	v_add_f64_e32 v[42:43], v[44:45], v[42:43]
	v_add_f64_e32 v[0:1], v[114:115], v[0:1]
	v_mul_f64_e32 v[44:45], s[34:35], v[62:63]
	v_add_f64_e32 v[78:79], v[134:135], v[78:79]
	v_mul_f64_e32 v[62:63], s[30:31], v[62:63]
	v_fma_f64 v[188:189], v[64:65], s[36:37], v[48:49]
	v_add_f64_e32 v[72:73], v[198:199], v[80:81]
	v_add_f64_e32 v[80:81], v[200:201], v[82:83]
	;; [unrolled: 1-line block ×11, first 2 shown]
	v_fma_f64 v[136:137], v[64:65], s[24:25], v[154:155]
	v_fma_f64 v[138:139], v[64:65], s[28:29], v[154:155]
	;; [unrolled: 1-line block ×11, first 2 shown]
	v_add_f64_e32 v[68:69], v[142:143], v[68:69]
	v_add_f64_e32 v[76:77], v[146:147], v[76:77]
	;; [unrolled: 1-line block ×3, first 2 shown]
	v_mul_f64_e32 v[114:115], s[54:55], v[60:61]
	v_mul_f64_e32 v[86:87], s[34:35], v[60:61]
	;; [unrolled: 1-line block ×3, first 2 shown]
	v_fma_f64 v[142:143], v[58:59], s[0:1], v[172:173]
	v_fma_f64 v[144:145], v[58:59], s[4:5], v[172:173]
	;; [unrolled: 1-line block ×3, first 2 shown]
	v_add_f64_e32 v[40:41], v[42:43], v[40:41]
	v_add_f64_e32 v[0:1], v[126:127], v[0:1]
	v_mul_f64_e32 v[42:43], s[30:31], v[60:61]
	v_mul_f64_e32 v[126:127], s[44:45], v[60:61]
	v_add_f64_e32 v[64:65], v[118:119], v[72:73]
	v_add_f64_e32 v[72:73], v[140:141], v[80:81]
	;; [unrolled: 1-line block ×12, first 2 shown]
	v_fma_f64 v[132:133], v[58:59], s[36:37], v[50:51]
	v_fma_f64 v[50:51], v[58:59], s[38:39], v[50:51]
	;; [unrolled: 1-line block ×13, first 2 shown]
	v_add_f64_e32 v[68:69], v[156:157], v[68:69]
	v_add_f64_e32 v[76:77], v[84:85], v[76:77]
	;; [unrolled: 1-line block ×3, first 2 shown]
	v_mul_f64_e32 v[78:79], s[56:57], v[56:57]
	v_mul_f64_e32 v[128:129], s[54:55], v[56:57]
	;; [unrolled: 1-line block ×3, first 2 shown]
	v_fma_f64 v[156:157], v[54:55], s[0:1], v[130:131]
	v_add_f64_e32 v[34:35], v[40:41], v[34:35]
	v_add_f64_e32 v[0:1], v[124:125], v[0:1]
	v_mul_f64_e32 v[40:41], s[26:27], v[60:61]
	v_mul_f64_e32 v[60:61], s[42:43], v[60:61]
	;; [unrolled: 1-line block ×3, first 2 shown]
	v_fma_f64 v[130:131], v[54:55], s[4:5], v[130:131]
	v_add_f64_e32 v[62:63], v[136:137], v[64:65]
	v_add_f64_e32 v[64:65], v[154:155], v[72:73]
	;; [unrolled: 1-line block ×12, first 2 shown]
	v_mul_f64_e32 v[70:71], s[44:45], v[56:57]
	v_mul_f64_e32 v[120:121], s[42:43], v[56:57]
	v_fma_f64 v[122:123], v[54:55], s[46:47], v[114:115]
	v_fma_f64 v[114:115], v[54:55], s[48:49], v[114:115]
	;; [unrolled: 1-line block ×8, first 2 shown]
	v_add_f64_e32 v[32:33], v[34:35], v[32:33]
	v_add_f64_e32 v[0:1], v[138:139], v[0:1]
	v_mul_f64_e32 v[34:35], s[26:27], v[56:57]
	v_mul_f64_e32 v[56:57], s[34:35], v[56:57]
	v_fma_f64 v[138:139], v[54:55], s[20:21], v[86:87]
	v_fma_f64 v[86:87], v[54:55], s[22:23], v[86:87]
	v_fma_f64 v[160:161], v[54:55], s[12:13], v[40:41]
	v_fma_f64 v[40:41], v[54:55], s[10:11], v[40:41]
	v_fma_f64 v[162:163], v[54:55], s[24:25], v[60:61]
	v_fma_f64 v[54:55], v[54:55], s[28:29], v[60:61]
	v_add_f64_e32 v[60:61], v[132:133], v[62:63]
	v_add_f64_e32 v[62:63], v[140:141], v[64:65]
	;; [unrolled: 1-line block ×15, first 2 shown]
	v_fma_f64 v[52:53], v[46:47], s[4:5], v[124:125]
	v_fma_f64 v[58:59], v[46:47], s[0:1], v[124:125]
	;; [unrolled: 1-line block ×9, first 2 shown]
	v_add_f64_e32 v[30:31], v[32:33], v[30:31]
	v_add_f64_e32 v[0:1], v[50:51], v[0:1]
	v_fma_f64 v[32:33], v[46:47], s[50:51], v[78:79]
	v_fma_f64 v[50:51], v[46:47], s[52:53], v[78:79]
	;; [unrolled: 1-line block ×7, first 2 shown]
	v_add_f64_e32 v[56:57], v[122:123], v[60:61]
	v_add_f64_e32 v[60:61], v[136:137], v[62:63]
	;; [unrolled: 1-line block ×34, first 2 shown]
	v_mul_u32_u24_e32 v28, 0x198, v95
	s_delay_alu instid0(VALU_DEP_1)
	v_add3_u32 v28, 0, v28, v99
	ds_store_2addr_b64 v28, v[32:33], v[48:49] offset0:6 offset1:9
	ds_store_2addr_b64 v28, v[52:53], v[54:55] offset0:12 offset1:15
	ds_store_2addr_b64 v28, v[56:57], v[60:61] offset0:18 offset1:21
	ds_store_2addr_b64 v28, v[62:63], v[36:37] offset0:24 offset1:27
	ds_store_2addr_b64 v28, v[38:39], v[58:59] offset0:30 offset1:33
	ds_store_2addr_b64 v28, v[40:41], v[34:35] offset0:36 offset1:39
	ds_store_2addr_b64 v28, v[44:45], v[42:43] offset0:42 offset1:45
	ds_store_2addr_b64 v28, v[26:27], v[30:31] offset1:3
	ds_store_b64 v28, v[0:1] offset:384
.LBB0_27:
	s_or_b32 exec_lo, exec_lo, s33
	v_mul_u32_u24_e32 v0, 6, v94
	global_wb scope:SCOPE_SE
	s_wait_dscnt 0x0
	s_barrier_signal -1
	s_barrier_wait -1
	global_inv scope:SCOPE_SE
	v_lshlrev_b32_e32 v0, 4, v0
	s_mov_b32 s0, 0x37e14327
	s_mov_b32 s10, 0xe976ee23
	;; [unrolled: 1-line block ×4, first 2 shown]
	s_clause 0x5
	global_load_b128 v[26:29], v0, s[8:9] offset:768
	global_load_b128 v[30:33], v0, s[8:9] offset:784
	global_load_b128 v[34:37], v0, s[8:9] offset:848
	global_load_b128 v[38:41], v0, s[8:9] offset:832
	global_load_b128 v[42:45], v0, s[8:9] offset:800
	global_load_b128 v[46:49], v0, s[8:9] offset:816
	ds_load_b64 v[0:1], v105
	ds_load_2addr_b64 v[50:53], v107 offset0:204 offset1:255
	ds_load_2addr_b64 v[54:57], v109 offset0:100 offset1:151
	;; [unrolled: 1-line block ×3, first 2 shown]
	ds_load_2addr_b64 v[62:65], v107 offset1:153
	ds_load_b64 v[74:75], v106
	ds_load_2addr_b64 v[66:69], v101 offset0:50 offset1:101
	ds_load_2addr_b64 v[70:73], v101 offset0:152 offset1:203
	s_mov_b32 s11, 0x3fe11646
	s_mov_b32 s12, 0x429ad128
	;; [unrolled: 1-line block ×12, first 2 shown]
	s_wait_alu 0xfffe
	s_mov_b32 s20, s18
	s_mov_b32 s24, s22
	global_wb scope:SCOPE_SE
	s_wait_loadcnt_dscnt 0x0
	s_barrier_signal -1
	s_barrier_wait -1
	global_inv scope:SCOPE_SE
	v_mul_f64_e32 v[76:77], v[0:1], v[28:29]
	v_mul_f64_e32 v[78:79], v[50:51], v[32:33]
	;; [unrolled: 1-line block ×22, first 2 shown]
	v_fma_f64 v[76:77], v[103:104], v[26:27], v[76:77]
	v_fma_f64 v[14:15], v[14:15], v[30:31], v[78:79]
	;; [unrolled: 1-line block ×4, first 2 shown]
	v_mul_f64_e32 v[78:79], v[72:73], v[48:49]
	v_mul_f64_e32 v[48:49], v[8:9], v[48:49]
	v_fma_f64 v[4:5], v[4:5], v[26:27], v[84:85]
	v_fma_f64 v[16:17], v[16:17], v[30:31], v[86:87]
	;; [unrolled: 1-line block ×4, first 2 shown]
	v_fma_f64 v[0:1], v[0:1], v[26:27], -v[112:113]
	v_fma_f64 v[50:51], v[50:51], v[30:31], -v[114:115]
	;; [unrolled: 1-line block ×8, first 2 shown]
	v_fma_f64 v[10:11], v[10:11], v[42:43], v[116:117]
	v_fma_f64 v[66:67], v[66:67], v[42:43], -v[118:119]
	v_fma_f64 v[6:7], v[6:7], v[46:47], v[120:121]
	v_fma_f64 v[70:71], v[70:71], v[46:47], -v[122:123]
	;; [unrolled: 2-line block ×3, first 2 shown]
	v_add_f64_e32 v[36:37], v[76:77], v[22:23]
	v_add_f64_e32 v[38:39], v[14:15], v[18:19]
	v_fma_f64 v[8:9], v[8:9], v[46:47], v[78:79]
	v_fma_f64 v[40:41], v[72:73], v[46:47], -v[48:49]
	v_add_f64_e64 v[14:15], v[14:15], -v[18:19]
	v_add_f64_e32 v[42:43], v[4:5], v[24:25]
	v_add_f64_e32 v[44:45], v[16:17], v[20:21]
	v_add_f64_e64 v[16:17], v[16:17], -v[20:21]
	v_add_f64_e64 v[4:5], v[4:5], -v[24:25]
	v_add_f64_e32 v[46:47], v[0:1], v[54:55]
	v_add_f64_e32 v[48:49], v[50:51], v[58:59]
	v_add_f64_e64 v[50:51], v[50:51], -v[58:59]
	;; [unrolled: 4-line block ×3, first 2 shown]
	v_add_f64_e64 v[26:27], v[26:27], -v[30:31]
	v_add_f64_e32 v[52:53], v[10:11], v[6:7]
	v_add_f64_e64 v[60:61], v[70:71], -v[66:67]
	v_add_f64_e32 v[66:67], v[66:67], v[70:71]
	v_add_f64_e64 v[6:7], v[6:7], -v[10:11]
	v_add_f64_e64 v[10:11], v[76:77], -v[22:23]
	v_add_f64_e32 v[32:33], v[38:39], v[36:37]
	v_add_f64_e32 v[54:55], v[12:13], v[8:9]
	v_add_f64_e64 v[64:65], v[40:41], -v[34:35]
	v_add_f64_e32 v[18:19], v[34:35], v[40:41]
	v_add_f64_e64 v[8:9], v[8:9], -v[12:13]
	;; [unrolled: 2-line block ×5, first 2 shown]
	v_add_f64_e64 v[12:13], v[36:37], -v[52:53]
	v_add_f64_e64 v[34:35], v[60:61], -v[50:51]
	v_add_f64_e64 v[20:21], v[52:53], -v[38:39]
	v_add_f64_e64 v[36:37], v[38:39], -v[36:37]
	v_add_f64_e64 v[38:39], v[46:47], -v[66:67]
	v_add_f64_e64 v[72:73], v[66:67], -v[48:49]
	v_add_f64_e32 v[50:51], v[60:61], v[50:51]
	v_add_f64_e64 v[76:77], v[6:7], -v[14:15]
	v_add_f64_e64 v[78:79], v[14:15], -v[10:11]
	;; [unrolled: 1-line block ×4, first 2 shown]
	v_add_f64_e32 v[14:15], v[6:7], v[14:15]
	v_add_f64_e64 v[6:7], v[10:11], -v[6:7]
	v_add_f64_e64 v[48:49], v[58:59], -v[56:57]
	v_add_f64_e32 v[32:33], v[52:53], v[32:33]
	v_add_f64_e64 v[52:53], v[42:43], -v[54:55]
	v_add_f64_e64 v[68:69], v[64:65], -v[28:29]
	;; [unrolled: 3-line block ×4, first 2 shown]
	v_add_f64_e32 v[16:17], v[8:9], v[16:17]
	v_add_f64_e32 v[22:23], v[66:67], v[22:23]
	v_add_f64_e64 v[66:67], v[18:19], -v[58:59]
	v_add_f64_e64 v[8:9], v[4:5], -v[8:9]
	v_add_f64_e32 v[18:19], v[18:19], v[24:25]
	v_mul_f64_e32 v[88:89], s[12:13], v[70:71]
	v_mul_f64_e32 v[12:13], s[0:1], v[12:13]
	;; [unrolled: 1-line block ×4, first 2 shown]
	v_add_f64_e64 v[34:35], v[26:27], -v[64:65]
	v_mul_f64_e32 v[64:65], s[12:13], v[40:41]
	v_mul_f64_e32 v[38:39], s[0:1], v[38:39]
	;; [unrolled: 1-line block ×3, first 2 shown]
	v_add_f64_e32 v[0:1], v[50:51], v[0:1]
	v_mul_f64_e32 v[50:51], s[10:11], v[76:77]
	v_mul_f64_e32 v[58:59], s[12:13], v[78:79]
	v_add_f64_e32 v[10:11], v[14:15], v[10:11]
	v_add_f64_e32 v[2:3], v[2:3], v[32:33]
	v_mul_f64_e32 v[52:53], s[0:1], v[52:53]
	v_mul_f64_e32 v[68:69], s[10:11], v[68:69]
	v_add_f64_e32 v[26:27], v[28:29], v[26:27]
	v_mul_f64_e32 v[28:29], s[0:1], v[80:81]
	v_mul_f64_e32 v[80:81], s[10:11], v[82:83]
	;; [unrolled: 3-line block ×3, first 2 shown]
	v_add_f64_e32 v[4:5], v[16:17], v[4:5]
	v_add_f64_e32 v[62:63], v[62:63], v[22:23]
	v_mul_f64_e32 v[76:77], s[4:5], v[66:67]
	s_mov_b32 s0, 0x37c3f68c
	s_mov_b32 s1, 0xbfdc38aa
	v_add_f64_e32 v[74:75], v[74:75], v[18:19]
	v_fma_f64 v[20:21], v[20:21], s[4:5], v[12:13]
	v_fma_f64 v[103:104], v[60:61], s[22:23], v[24:25]
	v_fma_f64 v[86:87], v[36:37], s[18:19], -v[86:87]
	v_fma_f64 v[24:25], v[40:41], s[12:13], -v[24:25]
	s_wait_alu 0xfffe
	v_fma_f64 v[40:41], v[60:61], s[24:25], -v[64:65]
	v_fma_f64 v[12:13], v[36:37], s[20:21], -v[12:13]
	v_fma_f64 v[14:15], v[72:73], s[4:5], v[38:39]
	v_fma_f64 v[16:17], v[46:47], s[18:19], -v[56:57]
	v_fma_f64 v[38:39], v[46:47], s[20:21], -v[38:39]
	;; [unrolled: 1-line block ×3, first 2 shown]
	v_fma_f64 v[32:33], v[32:33], s[14:15], v[2:3]
	v_fma_f64 v[36:37], v[54:55], s[4:5], v[52:53]
	;; [unrolled: 1-line block ×3, first 2 shown]
	v_fma_f64 v[60:61], v[70:71], s[12:13], -v[68:69]
	v_fma_f64 v[34:35], v[34:35], s[24:25], -v[88:89]
	;; [unrolled: 1-line block ×3, first 2 shown]
	v_fma_f64 v[30:31], v[30:31], s[14:15], v[90:91]
	v_fma_f64 v[42:43], v[42:43], s[18:19], -v[44:45]
	v_fma_f64 v[44:45], v[6:7], s[22:23], v[50:51]
	v_fma_f64 v[6:7], v[6:7], s[24:25], -v[58:59]
	v_fma_f64 v[22:23], v[22:23], s[14:15], v[62:63]
	v_fma_f64 v[50:51], v[66:67], s[4:5], v[28:29]
	v_fma_f64 v[56:57], v[48:49], s[18:19], -v[76:77]
	v_fma_f64 v[28:29], v[48:49], s[20:21], -v[28:29]
	v_fma_f64 v[48:49], v[8:9], s[22:23], v[80:81]
	v_fma_f64 v[58:59], v[84:85], s[12:13], -v[80:81]
	v_fma_f64 v[8:9], v[8:9], s[24:25], -v[82:83]
	v_fma_f64 v[18:19], v[18:19], s[14:15], v[74:75]
	v_fma_f64 v[64:65], v[0:1], s[0:1], v[103:104]
	;; [unrolled: 1-line block ×4, first 2 shown]
	v_add_f64_e32 v[20:21], v[20:21], v[32:33]
	v_add_f64_e32 v[12:13], v[12:13], v[32:33]
	v_add_f64_e32 v[32:33], v[86:87], v[32:33]
	v_fma_f64 v[40:41], v[26:27], s[0:1], v[54:55]
	v_fma_f64 v[54:55], v[26:27], s[0:1], v[60:61]
	v_fma_f64 v[26:27], v[26:27], s[0:1], v[34:35]
	v_add_f64_e32 v[34:35], v[36:37], v[30:31]
	v_add_f64_e32 v[36:37], v[52:53], v[30:31]
	v_add_f64_e32 v[30:31], v[42:43], v[30:31]
	v_fma_f64 v[42:43], v[10:11], s[0:1], v[44:45]
	v_fma_f64 v[44:45], v[10:11], s[0:1], v[46:47]
	v_fma_f64 v[6:7], v[10:11], s[0:1], v[6:7]
	;; [unrolled: 6-line block ×3, first 2 shown]
	v_add_f64_e32 v[8:9], v[50:51], v[18:19]
	v_add_f64_e32 v[46:47], v[28:29], v[18:19]
	;; [unrolled: 1-line block ×3, first 2 shown]
	v_lshl_add_u32 v28, v102, 3, 0
	v_add_nc_u32_e32 v29, 0x400, v107
	v_add_f64_e32 v[48:49], v[64:65], v[20:21]
	v_add_f64_e32 v[50:51], v[0:1], v[12:13]
	v_add_f64_e64 v[52:53], v[32:33], -v[24:25]
	v_add_f64_e32 v[24:25], v[24:25], v[32:33]
	v_add_f64_e64 v[0:1], v[12:13], -v[0:1]
	v_add_f64_e64 v[12:13], v[20:21], -v[64:65]
	v_add_f64_e32 v[20:21], v[40:41], v[34:35]
	v_add_f64_e32 v[32:33], v[26:27], v[36:37]
	v_add_f64_e64 v[56:57], v[30:31], -v[54:55]
	v_add_f64_e32 v[30:31], v[54:55], v[30:31]
	v_add_f64_e64 v[26:27], v[36:37], -v[26:27]
	v_add_f64_e64 v[34:35], v[34:35], -v[40:41]
	;; [unrolled: 1-line block ×4, first 2 shown]
	v_add_f64_e32 v[54:55], v[44:45], v[16:17]
	v_add_f64_e64 v[44:45], v[16:17], -v[44:45]
	v_add_f64_e32 v[58:59], v[6:7], v[14:15]
	v_add_f64_e32 v[42:43], v[42:43], v[10:11]
	v_add_f64_e64 v[60:61], v[8:9], -v[22:23]
	v_add_f64_e64 v[64:65], v[46:47], -v[4:5]
	v_add_f64_e32 v[66:67], v[38:39], v[18:19]
	v_add_f64_e64 v[38:39], v[18:19], -v[38:39]
	v_add_f64_e32 v[46:47], v[4:5], v[46:47]
	v_add_f64_e32 v[68:69], v[22:23], v[8:9]
	ds_store_2addr_b64 v107, v[2:3], v[48:49] offset1:51
	ds_store_2addr_b64 v107, v[50:51], v[52:53] offset0:102 offset1:153
	ds_store_2addr_b64 v107, v[24:25], v[0:1] offset0:204 offset1:255
	;; [unrolled: 1-line block ×6, first 2 shown]
	global_wb scope:SCOPE_SE
	s_wait_dscnt 0x0
	s_barrier_signal -1
	s_barrier_wait -1
	global_inv scope:SCOPE_SE
	ds_load_2addr_b64 v[0:3], v107 offset1:204
	ds_load_2addr_b64 v[8:11], v101 offset0:101 offset1:152
	ds_load_b64 v[20:21], v28
	ds_load_b64 v[26:27], v107 offset:5304
	ds_load_b64 v[24:25], v106
	ds_load_b64 v[22:23], v105
	ds_load_2addr_b64 v[16:19], v101 offset0:203 offset1:254
	ds_load_2addr_b64 v[12:15], v109 offset0:49 offset1:100
	ds_load_2addr_b64 v[4:7], v29 offset0:127 offset1:178
	global_wb scope:SCOPE_SE
	s_wait_dscnt 0x0
	s_barrier_signal -1
	s_barrier_wait -1
	global_inv scope:SCOPE_SE
	ds_store_2addr_b64 v107, v[62:63], v[36:37] offset1:51
	ds_store_2addr_b64 v107, v[40:41], v[54:55] offset0:102 offset1:153
	ds_store_2addr_b64 v107, v[44:45], v[58:59] offset0:204 offset1:255
	ds_store_2addr_b64 v101, v[42:43], v[74:75] offset0:50 offset1:101
	ds_store_2addr_b64 v101, v[60:61], v[64:65] offset0:152 offset1:203
	ds_store_2addr_b64 v108, v[66:67], v[38:39] offset0:126 offset1:177
	ds_store_2addr_b64 v109, v[46:47], v[68:69] offset0:100 offset1:151
	global_wb scope:SCOPE_SE
	s_wait_dscnt 0x0
	s_barrier_signal -1
	s_barrier_wait -1
	global_inv scope:SCOPE_SE
	s_and_saveexec_b32 s0, vcc_lo
	s_cbranch_execz .LBB0_29
; %bb.28:
	v_dual_mov_b32 v95, 0 :: v_dual_add_nc_u32 v66, 0x1000, v107
	v_mul_lo_u32 v88, s3, v96
	v_mad_co_u64_u32 v[78:79], null, s2, v96, 0
	s_delay_alu instid0(VALU_DEP_3) | instskip(SKIP_3) | instid1(VALU_DEP_4)
	v_lshlrev_b64_e32 v[30:31], 4, v[94:95]
	v_mov_b32_e32 v101, v95
	v_dual_mov_b32 v99, v95 :: v_dual_add_nc_u32 v96, 0xff, v94
	v_dual_mov_b32 v103, v95 :: v_dual_add_nc_u32 v74, 0x800, v107
	v_add_co_u32 v54, vcc_lo, s8, v30
	s_wait_alu 0xfffd
	v_add_co_ci_u32_e32 v55, vcc_lo, s9, v31, vcc_lo
	v_lshlrev_b64_e32 v[38:39], 4, v[100:101]
	v_lshlrev_b64_e32 v[40:41], 4, v[98:99]
	;; [unrolled: 1-line block ×3, first 2 shown]
	s_clause 0x1
	global_load_b128 v[30:33], v[54:55], off offset:10560
	global_load_b128 v[34:37], v[54:55], off offset:9744
	v_mul_lo_u32 v89, s2, v97
	v_mul_hi_u32 v90, 0x16f26017, v94
	v_add_co_u32 v46, vcc_lo, s8, v38
	s_wait_alu 0xfffd
	v_add_co_ci_u32_e32 v47, vcc_lo, s9, v39, vcc_lo
	v_add_co_u32 v44, vcc_lo, s8, v40
	s_wait_alu 0xfffd
	v_add_co_ci_u32_e32 v45, vcc_lo, s9, v41, vcc_lo
	global_load_b128 v[38:41], v[54:55], off offset:5664
	v_add_co_u32 v50, vcc_lo, s8, v42
	s_wait_alu 0xfffd
	v_add_co_ci_u32_e32 v51, vcc_lo, s9, v43, vcc_lo
	s_clause 0x3
	global_load_b128 v[42:45], v[44:45], off offset:5664
	global_load_b128 v[46:49], v[46:47], off offset:5664
	global_load_b128 v[50:53], v[50:51], off offset:5664
	global_load_b128 v[54:57], v[54:55], off offset:8928
	ds_load_2addr_b64 v[58:61], v29 offset0:127 offset1:178
	ds_load_b64 v[80:81], v107 offset:5304
	ds_load_2addr_b64 v[62:65], v107 offset1:204
	ds_load_b64 v[82:83], v105
	ds_load_b64 v[84:85], v28
	;; [unrolled: 1-line block ×3, first 2 shown]
	v_lshlrev_b64_e32 v[28:29], 4, v[92:93]
	v_add_nc_u32_e32 v91, 51, v94
	v_add_nc_u32_e32 v92, 0x66, v94
	v_add_nc_u32_e32 v93, 0x99, v94
	v_add_nc_u32_e32 v95, 0xcc, v94
	v_add_nc_u32_e32 v97, 0x132, v94
	v_mul_hi_u32 v98, 0x16f26017, v91
	v_mul_hi_u32 v99, 0x16f26017, v92
	;; [unrolled: 1-line block ×3, first 2 shown]
	v_add3_u32 v79, v79, v89, v88
	v_mul_hi_u32 v88, 0x16f26017, v95
	v_lshrrev_b32_e32 v90, 5, v90
	v_mul_hi_u32 v89, 0x16f26017, v96
	v_mul_hi_u32 v101, 0x16f26017, v97
	v_lshrrev_b32_e32 v98, 5, v98
	v_lshrrev_b32_e32 v99, 5, v99
	v_mul_u32_u24_e32 v90, 0x165, v90
	v_lshrrev_b32_e32 v100, 5, v100
	v_lshrrev_b32_e32 v88, 5, v88
	v_lshlrev_b64_e32 v[78:79], 4, v[78:79]
	v_lshrrev_b32_e32 v89, 5, v89
	v_lshrrev_b32_e32 v101, 5, v101
	v_sub_nc_u32_e32 v102, v94, v90
	v_mul_u32_u24_e32 v90, 0x165, v98
	v_mul_u32_u24_e32 v94, 0x165, v99
	;; [unrolled: 1-line block ×6, first 2 shown]
	v_sub_nc_u32_e32 v90, v91, v90
	v_sub_nc_u32_e32 v91, v92, v94
	;; [unrolled: 1-line block ×4, first 2 shown]
	v_add_co_u32 v107, vcc_lo, s6, v78
	s_wait_alu 0xfffd
	v_add_co_ci_u32_e32 v108, vcc_lo, s7, v79, vcc_lo
	v_add_nc_u32_e32 v113, 0x165, v102
	v_sub_nc_u32_e32 v94, v96, v105
	v_sub_nc_u32_e32 v95, v97, v106
	v_mad_u32_u24 v115, 0x2ca, v98, v90
	v_mad_u32_u24 v116, 0x2ca, v99, v91
	ds_load_2addr_b64 v[66:69], v66 offset0:49 offset1:100
	ds_load_2addr_b64 v[70:73], v74 offset0:203 offset1:254
	;; [unrolled: 1-line block ×3, first 2 shown]
	v_mad_u32_u24 v117, 0x2ca, v100, v92
	v_mad_co_u64_u32 v[78:79], null, s16, v102, 0
	v_mad_u32_u24 v118, 0x2ca, v88, v93
	v_add_co_u32 v139, vcc_lo, v107, v28
	s_wait_alu 0xfffd
	v_add_co_ci_u32_e32 v140, vcc_lo, v108, v29, vcc_lo
	v_mad_co_u64_u32 v[28:29], null, s16, v113, 0
	v_mad_u32_u24 v131, 0x2ca, v89, v94
	v_mad_u32_u24 v133, 0x2ca, v101, v95
	v_mad_co_u64_u32 v[88:89], null, s16, v115, 0
	v_mad_co_u64_u32 v[90:91], null, s16, v116, 0
	v_mad_co_u64_u32 v[92:93], null, s16, v117, 0
	v_mad_co_u64_u32 v[94:95], null, s16, v118, 0
	v_mad_co_u64_u32 v[96:97], null, s16, v131, 0
	v_mad_co_u64_u32 v[98:99], null, s16, v133, 0
	s_wait_dscnt 0x7
	v_mad_co_u64_u32 v[100:101], null, s17, v102, v[79:80]
	v_add_nc_u32_e32 v134, 0x165, v115
	v_add_nc_u32_e32 v136, 0x165, v117
	;; [unrolled: 1-line block ×6, first 2 shown]
	v_mov_b32_e32 v79, v100
	s_delay_alu instid0(VALU_DEP_4) | instskip(NEXT) | instid1(VALU_DEP_3)
	v_mad_co_u64_u32 v[103:104], null, s16, v135, 0
	v_mad_co_u64_u32 v[111:112], null, s16, v141, 0
	s_delay_alu instid0(VALU_DEP_3)
	v_lshlrev_b64_e32 v[78:79], 4, v[78:79]
	v_mad_co_u64_u32 v[107:108], null, s16, v137, 0
	s_wait_loadcnt 0x6
	v_mad_co_u64_u32 v[113:114], null, s17, v113, v[29:30]
	v_mov_b32_e32 v29, v89
	v_mov_b32_e32 v89, v91
	;; [unrolled: 1-line block ×6, first 2 shown]
	v_mad_co_u64_u32 v[99:100], null, s17, v115, v[29:30]
	v_mad_co_u64_u32 v[114:115], null, s17, v116, v[89:90]
	;; [unrolled: 1-line block ×4, first 2 shown]
	v_mul_f64_e32 v[117:118], v[26:27], v[32:33]
	v_mul_f64_e32 v[32:33], v[80:81], v[32:33]
	s_wait_loadcnt 0x4
	v_mul_f64_e32 v[121:122], v[8:9], v[40:41]
	s_wait_dscnt 0x0
	v_mul_f64_e32 v[40:41], v[74:75], v[40:41]
	s_wait_loadcnt 0x3
	v_mul_f64_e32 v[123:124], v[10:11], v[44:45]
	v_mul_f64_e32 v[44:45], v[76:77], v[44:45]
	;; [unrolled: 1-line block ×3, first 2 shown]
	s_wait_loadcnt 0x2
	v_mul_f64_e32 v[125:126], v[16:17], v[48:49]
	v_mul_f64_e32 v[48:49], v[70:71], v[48:49]
	s_wait_loadcnt 0x1
	v_mul_f64_e32 v[127:128], v[18:19], v[52:53]
	v_mul_f64_e32 v[52:53], v[72:73], v[52:53]
	s_wait_loadcnt 0x0
	v_mul_f64_e32 v[129:130], v[12:13], v[56:57]
	v_mul_f64_e32 v[56:57], v[66:67], v[56:57]
	v_mul_f64_e32 v[36:37], v[68:69], v[36:37]
	v_mov_b32_e32 v29, v113
	v_mad_co_u64_u32 v[101:102], null, s16, v134, 0
	v_mad_co_u64_u32 v[105:106], null, s16, v136, 0
	s_delay_alu instid0(VALU_DEP_3)
	v_lshlrev_b64_e32 v[28:29], 4, v[28:29]
	v_mov_b32_e32 v89, v104
	v_mad_co_u64_u32 v[109:110], null, s16, v138, 0
	v_mov_b32_e32 v100, v102
	v_mad_co_u64_u32 v[131:132], null, s17, v131, v[95:96]
	;; [unrolled: 2-line block ×4, first 2 shown]
	v_mad_co_u64_u32 v[133:134], null, s17, v135, v[89:90]
	v_mov_b32_e32 v89, v99
	v_mov_b32_e32 v93, v108
	v_mad_co_u64_u32 v[134:135], null, s17, v136, v[91:92]
	v_fma_f64 v[80:81], v[80:81], v[30:31], -v[117:118]
	v_fma_f64 v[26:27], v[26:27], v[30:31], v[32:33]
	v_fma_f64 v[32:33], v[74:75], v[38:39], -v[121:122]
	v_fma_f64 v[38:39], v[8:9], v[38:39], v[40:41]
	;; [unrolled: 2-line block ×3, first 2 shown]
	v_fma_f64 v[30:31], v[68:69], v[34:35], -v[119:120]
	v_fma_f64 v[44:45], v[70:71], v[46:47], -v[125:126]
	v_fma_f64 v[46:47], v[16:17], v[46:47], v[48:49]
	v_fma_f64 v[48:49], v[72:73], v[50:51], -v[127:128]
	v_fma_f64 v[50:51], v[18:19], v[50:51], v[52:53]
	;; [unrolled: 2-line block ×3, first 2 shown]
	v_fma_f64 v[54:55], v[14:15], v[34:35], v[36:37]
	v_add_co_u32 v66, vcc_lo, v139, v78
	s_wait_alu 0xfffd
	v_add_co_ci_u32_e32 v67, vcc_lo, v140, v79, vcc_lo
	v_add_co_u32 v78, vcc_lo, v139, v28
	s_wait_alu 0xfffd
	v_add_co_ci_u32_e32 v79, vcc_lo, v140, v29, vcc_lo
	v_mov_b32_e32 v91, v114
	v_mov_b32_e32 v95, v110
	v_lshlrev_b64_e32 v[56:57], 4, v[88:89]
	v_mad_co_u64_u32 v[135:136], null, s17, v137, v[93:94]
	v_mov_b32_e32 v93, v115
	v_mov_b32_e32 v99, v132
	v_lshlrev_b64_e32 v[68:69], 4, v[90:91]
	v_mad_co_u64_u32 v[136:137], null, s17, v138, v[95:96]
	v_mov_b32_e32 v95, v116
	v_mad_co_u64_u32 v[137:138], null, s17, v141, v[97:98]
	v_lshlrev_b64_e32 v[70:71], 4, v[92:93]
	v_lshlrev_b64_e32 v[76:77], 4, v[98:99]
	v_add_co_u32 v98, vcc_lo, v139, v56
	v_add_f64_e64 v[8:9], v[6:7], -v[26:27]
	v_add_f64_e64 v[18:19], v[62:63], -v[32:33]
	v_add_f64_e64 v[16:17], v[0:1], -v[38:39]
	v_add_f64_e64 v[28:29], v[86:87], -v[40:41]
	v_add_f64_e64 v[26:27], v[24:25], -v[42:43]
	v_add_f64_e64 v[14:15], v[58:59], -v[30:31]
	v_add_f64_e64 v[32:33], v[82:83], -v[44:45]
	v_add_f64_e64 v[30:31], v[22:23], -v[46:47]
	v_add_f64_e64 v[36:37], v[84:85], -v[48:49]
	v_add_f64_e64 v[34:35], v[20:21], -v[50:51]
	v_add_f64_e64 v[10:11], v[60:61], -v[80:81]
	v_add_f64_e64 v[40:41], v[64:65], -v[52:53]
	v_add_f64_e64 v[38:39], v[2:3], -v[12:13]
	v_add_f64_e64 v[12:13], v[4:5], -v[54:55]
	v_mov_b32_e32 v97, v131
	s_wait_alu 0xfffd
	v_add_co_ci_u32_e32 v99, vcc_lo, v140, v57, vcc_lo
	v_lshlrev_b64_e32 v[72:73], 4, v[94:95]
	v_add_co_u32 v68, vcc_lo, v139, v68
	s_wait_alu 0xfffd
	v_add_co_ci_u32_e32 v69, vcc_lo, v140, v69, vcc_lo
	v_lshlrev_b64_e32 v[74:75], 4, v[96:97]
	v_add_co_u32 v70, vcc_lo, v139, v70
	v_mov_b32_e32 v102, v112
	v_mov_b32_e32 v112, v137
	s_wait_alu 0xfffd
	v_add_co_ci_u32_e32 v71, vcc_lo, v140, v71, vcc_lo
	v_add_co_u32 v72, vcc_lo, v139, v72
	v_mov_b32_e32 v104, v133
	s_wait_alu 0xfffd
	v_add_co_ci_u32_e32 v73, vcc_lo, v140, v73, vcc_lo
	v_lshlrev_b64_e32 v[88:89], 4, v[101:102]
	v_add_co_u32 v74, vcc_lo, v139, v74
	v_mov_b32_e32 v106, v134
	v_fma_f64 v[42:43], v[6:7], 2.0, -v[8:9]
	v_fma_f64 v[48:49], v[62:63], 2.0, -v[18:19]
	;; [unrolled: 1-line block ×14, first 2 shown]
	s_wait_alu 0xfffd
	v_add_co_ci_u32_e32 v75, vcc_lo, v140, v75, vcc_lo
	v_lshlrev_b64_e32 v[90:91], 4, v[103:104]
	v_add_co_u32 v0, vcc_lo, v139, v76
	v_mov_b32_e32 v108, v135
	s_wait_alu 0xfffd
	v_add_co_ci_u32_e32 v1, vcc_lo, v140, v77, vcc_lo
	v_lshlrev_b64_e32 v[80:81], 4, v[105:106]
	v_add_co_u32 v2, vcc_lo, v139, v88
	v_mov_b32_e32 v110, v136
	s_wait_alu 0xfffd
	v_add_co_ci_u32_e32 v3, vcc_lo, v140, v89, vcc_lo
	v_lshlrev_b64_e32 v[92:93], 4, v[107:108]
	v_add_co_u32 v20, vcc_lo, v139, v90
	s_wait_alu 0xfffd
	v_add_co_ci_u32_e32 v21, vcc_lo, v140, v91, vcc_lo
	v_lshlrev_b64_e32 v[94:95], 4, v[109:110]
	v_add_co_u32 v62, vcc_lo, v139, v80
	;; [unrolled: 4-line block ×3, first 2 shown]
	s_wait_alu 0xfffd
	v_add_co_ci_u32_e32 v65, vcc_lo, v140, v93, vcc_lo
	v_add_co_u32 v76, vcc_lo, v139, v94
	s_wait_alu 0xfffd
	v_add_co_ci_u32_e32 v77, vcc_lo, v140, v95, vcc_lo
	v_add_co_u32 v80, vcc_lo, v139, v96
	s_wait_alu 0xfffd
	v_add_co_ci_u32_e32 v81, vcc_lo, v140, v97, vcc_lo
	s_clause 0xd
	global_store_b128 v[66:67], v[46:49], off
	global_store_b128 v[78:79], v[16:19], off
	;; [unrolled: 1-line block ×14, first 2 shown]
.LBB0_29:
	s_nop 0
	s_sendmsg sendmsg(MSG_DEALLOC_VGPRS)
	s_endpgm
	.section	.rodata,"a",@progbits
	.p2align	6, 0x0
	.amdhsa_kernel fft_rtc_back_len714_factors_3_17_7_2_wgs_51_tpt_51_halfLds_dp_op_CI_CI_sbrr_dirReg
		.amdhsa_group_segment_fixed_size 0
		.amdhsa_private_segment_fixed_size 0
		.amdhsa_kernarg_size 104
		.amdhsa_user_sgpr_count 2
		.amdhsa_user_sgpr_dispatch_ptr 0
		.amdhsa_user_sgpr_queue_ptr 0
		.amdhsa_user_sgpr_kernarg_segment_ptr 1
		.amdhsa_user_sgpr_dispatch_id 0
		.amdhsa_user_sgpr_private_segment_size 0
		.amdhsa_wavefront_size32 1
		.amdhsa_uses_dynamic_stack 0
		.amdhsa_enable_private_segment 0
		.amdhsa_system_sgpr_workgroup_id_x 1
		.amdhsa_system_sgpr_workgroup_id_y 0
		.amdhsa_system_sgpr_workgroup_id_z 0
		.amdhsa_system_sgpr_workgroup_info 0
		.amdhsa_system_vgpr_workitem_id 0
		.amdhsa_next_free_vgpr 224
		.amdhsa_next_free_sgpr 60
		.amdhsa_reserve_vcc 1
		.amdhsa_float_round_mode_32 0
		.amdhsa_float_round_mode_16_64 0
		.amdhsa_float_denorm_mode_32 3
		.amdhsa_float_denorm_mode_16_64 3
		.amdhsa_fp16_overflow 0
		.amdhsa_workgroup_processor_mode 1
		.amdhsa_memory_ordered 1
		.amdhsa_forward_progress 0
		.amdhsa_round_robin_scheduling 0
		.amdhsa_exception_fp_ieee_invalid_op 0
		.amdhsa_exception_fp_denorm_src 0
		.amdhsa_exception_fp_ieee_div_zero 0
		.amdhsa_exception_fp_ieee_overflow 0
		.amdhsa_exception_fp_ieee_underflow 0
		.amdhsa_exception_fp_ieee_inexact 0
		.amdhsa_exception_int_div_zero 0
	.end_amdhsa_kernel
	.text
.Lfunc_end0:
	.size	fft_rtc_back_len714_factors_3_17_7_2_wgs_51_tpt_51_halfLds_dp_op_CI_CI_sbrr_dirReg, .Lfunc_end0-fft_rtc_back_len714_factors_3_17_7_2_wgs_51_tpt_51_halfLds_dp_op_CI_CI_sbrr_dirReg
                                        ; -- End function
	.section	.AMDGPU.csdata,"",@progbits
; Kernel info:
; codeLenInByte = 13512
; NumSgprs: 62
; NumVgprs: 224
; ScratchSize: 0
; MemoryBound: 1
; FloatMode: 240
; IeeeMode: 1
; LDSByteSize: 0 bytes/workgroup (compile time only)
; SGPRBlocks: 7
; VGPRBlocks: 27
; NumSGPRsForWavesPerEU: 62
; NumVGPRsForWavesPerEU: 224
; Occupancy: 6
; WaveLimiterHint : 1
; COMPUTE_PGM_RSRC2:SCRATCH_EN: 0
; COMPUTE_PGM_RSRC2:USER_SGPR: 2
; COMPUTE_PGM_RSRC2:TRAP_HANDLER: 0
; COMPUTE_PGM_RSRC2:TGID_X_EN: 1
; COMPUTE_PGM_RSRC2:TGID_Y_EN: 0
; COMPUTE_PGM_RSRC2:TGID_Z_EN: 0
; COMPUTE_PGM_RSRC2:TIDIG_COMP_CNT: 0
	.text
	.p2alignl 7, 3214868480
	.fill 96, 4, 3214868480
	.type	__hip_cuid_3f6d7eca78122249,@object ; @__hip_cuid_3f6d7eca78122249
	.section	.bss,"aw",@nobits
	.globl	__hip_cuid_3f6d7eca78122249
__hip_cuid_3f6d7eca78122249:
	.byte	0                               ; 0x0
	.size	__hip_cuid_3f6d7eca78122249, 1

	.ident	"AMD clang version 19.0.0git (https://github.com/RadeonOpenCompute/llvm-project roc-6.4.0 25133 c7fe45cf4b819c5991fe208aaa96edf142730f1d)"
	.section	".note.GNU-stack","",@progbits
	.addrsig
	.addrsig_sym __hip_cuid_3f6d7eca78122249
	.amdgpu_metadata
---
amdhsa.kernels:
  - .args:
      - .actual_access:  read_only
        .address_space:  global
        .offset:         0
        .size:           8
        .value_kind:     global_buffer
      - .offset:         8
        .size:           8
        .value_kind:     by_value
      - .actual_access:  read_only
        .address_space:  global
        .offset:         16
        .size:           8
        .value_kind:     global_buffer
      - .actual_access:  read_only
        .address_space:  global
        .offset:         24
        .size:           8
        .value_kind:     global_buffer
      - .actual_access:  read_only
        .address_space:  global
        .offset:         32
        .size:           8
        .value_kind:     global_buffer
      - .offset:         40
        .size:           8
        .value_kind:     by_value
      - .actual_access:  read_only
        .address_space:  global
        .offset:         48
        .size:           8
        .value_kind:     global_buffer
      - .actual_access:  read_only
        .address_space:  global
        .offset:         56
        .size:           8
        .value_kind:     global_buffer
      - .offset:         64
        .size:           4
        .value_kind:     by_value
      - .actual_access:  read_only
        .address_space:  global
        .offset:         72
        .size:           8
        .value_kind:     global_buffer
      - .actual_access:  read_only
        .address_space:  global
        .offset:         80
        .size:           8
        .value_kind:     global_buffer
      - .actual_access:  read_only
        .address_space:  global
        .offset:         88
        .size:           8
        .value_kind:     global_buffer
      - .actual_access:  write_only
        .address_space:  global
        .offset:         96
        .size:           8
        .value_kind:     global_buffer
    .group_segment_fixed_size: 0
    .kernarg_segment_align: 8
    .kernarg_segment_size: 104
    .language:       OpenCL C
    .language_version:
      - 2
      - 0
    .max_flat_workgroup_size: 51
    .name:           fft_rtc_back_len714_factors_3_17_7_2_wgs_51_tpt_51_halfLds_dp_op_CI_CI_sbrr_dirReg
    .private_segment_fixed_size: 0
    .sgpr_count:     62
    .sgpr_spill_count: 0
    .symbol:         fft_rtc_back_len714_factors_3_17_7_2_wgs_51_tpt_51_halfLds_dp_op_CI_CI_sbrr_dirReg.kd
    .uniform_work_group_size: 1
    .uses_dynamic_stack: false
    .vgpr_count:     224
    .vgpr_spill_count: 0
    .wavefront_size: 32
    .workgroup_processor_mode: 1
amdhsa.target:   amdgcn-amd-amdhsa--gfx1201
amdhsa.version:
  - 1
  - 2
...

	.end_amdgpu_metadata
